;; amdgpu-corpus repo=ROCm/hipCUB kind=compiled arch=gfx1100 opt=O3
	.text
	.amdgcn_target "amdgcn-amd-amdhsa--gfx1100"
	.amdhsa_code_object_version 6
	.section	.text._Z16histogram_kernelILj1024ELj1ELj1024ELN6hipcub23BlockHistogramAlgorithmE1EtEvPT3_S3_,"axG",@progbits,_Z16histogram_kernelILj1024ELj1ELj1024ELN6hipcub23BlockHistogramAlgorithmE1EtEvPT3_S3_,comdat
	.protected	_Z16histogram_kernelILj1024ELj1ELj1024ELN6hipcub23BlockHistogramAlgorithmE1EtEvPT3_S3_ ; -- Begin function _Z16histogram_kernelILj1024ELj1ELj1024ELN6hipcub23BlockHistogramAlgorithmE1EtEvPT3_S3_
	.globl	_Z16histogram_kernelILj1024ELj1ELj1024ELN6hipcub23BlockHistogramAlgorithmE1EtEvPT3_S3_
	.p2align	8
	.type	_Z16histogram_kernelILj1024ELj1ELj1024ELN6hipcub23BlockHistogramAlgorithmE1EtEvPT3_S3_,@function
_Z16histogram_kernelILj1024ELj1ELj1024ELN6hipcub23BlockHistogramAlgorithmE1EtEvPT3_S3_: ; @_Z16histogram_kernelILj1024ELj1ELj1024ELN6hipcub23BlockHistogramAlgorithmE1EtEvPT3_S3_
; %bb.0:
	s_load_b128 s[16:19], s[0:1], 0x0
	v_and_b32_e32 v3, 0x3ff, v0
	v_mov_b32_e32 v5, 0
	s_load_b32 s1, s[0:1], 0x1c
	v_mbcnt_lo_u32_b32 v18, -1, 0
	s_delay_alu instid0(VALU_DEP_3) | instskip(NEXT) | instid1(VALU_DEP_1)
	v_lshl_or_b32 v4, s15, 10, v3
	v_lshlrev_b64 v[1:2], 1, v[4:5]
	s_waitcnt lgkmcnt(0)
	s_delay_alu instid0(VALU_DEP_1) | instskip(NEXT) | instid1(VALU_DEP_2)
	v_add_co_u32 v6, vcc_lo, s16, v1
	v_add_co_ci_u32_e32 v7, vcc_lo, s17, v2, vcc_lo
	s_lshr_b32 s2, s1, 16
	global_load_u16 v15, v[6:7], off
	v_bfe_u32 v6, v0, 20, 10
	s_waitcnt vmcnt(0)
	v_and_b32_e32 v4, 0xff, v15
	s_delay_alu instid0(VALU_DEP_1) | instskip(SKIP_2) | instid1(VALU_DEP_3)
	v_and_b32_e32 v8, 0xffff, v4
	v_bfe_u32 v4, v0, 10, 10
	v_lshlrev_b32_e32 v0, 1, v3
	v_and_b32_e32 v7, 1, v8
	v_lshlrev_b32_e32 v9, 30, v8
	v_lshlrev_b32_e32 v10, 29, v8
	;; [unrolled: 1-line block ×4, first 2 shown]
	v_add_co_u32 v7, s0, v7, -1
	s_delay_alu instid0(VALU_DEP_1)
	v_cndmask_b32_e64 v12, 0, 1, s0
	v_not_b32_e32 v17, v9
	v_cmp_gt_i32_e64 s0, 0, v9
	v_not_b32_e32 v9, v10
	v_lshlrev_b32_e32 v14, 26, v8
	v_cmp_ne_u32_e32 vcc_lo, 0, v12
	v_ashrrev_i32_e32 v12, 31, v17
	v_lshlrev_b32_e32 v16, 25, v8
	v_ashrrev_i32_e32 v9, 31, v9
	v_lshlrev_b32_e32 v19, 24, v8
	v_xor_b32_e32 v7, vcc_lo, v7
	v_cmp_gt_i32_e32 vcc_lo, 0, v10
	v_not_b32_e32 v10, v11
	v_xor_b32_e32 v12, s0, v12
	v_cmp_gt_i32_e64 s0, 0, v11
	v_and_b32_e32 v7, exec_lo, v7
	v_not_b32_e32 v11, v13
	v_ashrrev_i32_e32 v10, 31, v10
	v_xor_b32_e32 v9, vcc_lo, v9
	v_cmp_gt_i32_e32 vcc_lo, 0, v13
	v_and_b32_e32 v7, v7, v12
	v_not_b32_e32 v12, v14
	v_ashrrev_i32_e32 v11, 31, v11
	v_xor_b32_e32 v10, s0, v10
	v_cmp_gt_i32_e64 s0, 0, v14
	v_and_b32_e32 v7, v7, v9
	v_not_b32_e32 v9, v16
	v_ashrrev_i32_e32 v12, 31, v12
	v_xor_b32_e32 v11, vcc_lo, v11
	v_cmp_gt_i32_e32 vcc_lo, 0, v16
	v_and_b32_e32 v7, v7, v10
	v_not_b32_e32 v10, v19
	v_ashrrev_i32_e32 v9, 31, v9
	v_xor_b32_e32 v13, s0, v12
	v_cmp_gt_i32_e64 s0, 0, v19
	v_and_b32_e32 v7, v7, v11
	v_ashrrev_i32_e32 v10, 31, v10
	v_xor_b32_e32 v9, vcc_lo, v9
	v_lshlrev_b32_e32 v12, 5, v3
	ds_store_b16 v0, v5 offset:32896
	v_and_b32_e32 v7, v7, v13
	v_xor_b32_e32 v10, s0, v10
	s_and_b32 s0, s1, 0xffff
	s_waitcnt lgkmcnt(0)
	s_barrier
	v_and_b32_e32 v7, v7, v9
	v_mad_u32_u24 v9, v6, s2, v4
	buffer_gl0_inv
	ds_store_2addr_b32 v12, v5, v5 offset0:32 offset1:33
	ds_store_2addr_b32 v12, v5, v5 offset0:34 offset1:35
	;; [unrolled: 1-line block ×4, first 2 shown]
	v_lshlrev_b32_e32 v5, 5, v8
	v_and_b32_e32 v4, v7, v10
	v_lshrrev_b32_e32 v14, 5, v3
	v_add_nc_u32_e32 v13, 0x80, v12
	s_waitcnt lgkmcnt(0)
	s_barrier
	v_mad_u64_u32 v[6:7], null, v9, s0, v[3:4]
	v_mbcnt_lo_u32_b32 v21, v4, 0
	v_cmp_ne_u32_e64 s0, 0, v4
	buffer_gl0_inv
	; wave barrier
	v_cmp_eq_u32_e32 vcc_lo, 0, v21
	v_lshrrev_b32_e32 v16, 5, v6
	s_and_b32 s1, s0, vcc_lo
	s_delay_alu instid0(VALU_DEP_1)
	v_add_lshl_u32 v22, v16, v5, 2
	s_and_saveexec_b32 s0, s1
	s_cbranch_execz .LBB0_2
; %bb.1:
	v_bcnt_u32_b32 v4, v4, 0
	ds_store_b32 v22, v4 offset:128
.LBB0_2:
	s_or_b32 exec_lo, exec_lo, s0
	; wave barrier
	s_waitcnt lgkmcnt(0)
	s_barrier
	buffer_gl0_inv
	ds_load_2addr_b32 v[10:11], v12 offset0:32 offset1:33
	ds_load_2addr_b32 v[8:9], v13 offset0:2 offset1:3
	;; [unrolled: 1-line block ×4, first 2 shown]
	v_and_b32_e32 v20, 16, v18
	v_and_b32_e32 v23, 31, v3
	s_delay_alu instid0(VALU_DEP_2) | instskip(NEXT) | instid1(VALU_DEP_2)
	v_cmp_eq_u32_e64 s5, 0, v20
	v_cmp_eq_u32_e64 s6, 31, v23
	s_waitcnt lgkmcnt(3)
	v_add_nc_u32_e32 v17, v11, v10
	s_waitcnt lgkmcnt(2)
	s_delay_alu instid0(VALU_DEP_1) | instskip(SKIP_1) | instid1(VALU_DEP_1)
	v_add3_u32 v17, v17, v8, v9
	s_waitcnt lgkmcnt(1)
	v_add3_u32 v17, v17, v4, v5
	s_waitcnt lgkmcnt(0)
	s_delay_alu instid0(VALU_DEP_1) | instskip(SKIP_1) | instid1(VALU_DEP_2)
	v_add3_u32 v7, v17, v6, v7
	v_and_b32_e32 v17, 15, v18
	v_mov_b32_dpp v19, v7 row_shr:1 row_mask:0xf bank_mask:0xf
	s_delay_alu instid0(VALU_DEP_2) | instskip(SKIP_3) | instid1(VALU_DEP_4)
	v_cmp_eq_u32_e64 s0, 0, v17
	v_cmp_lt_u32_e64 s1, 1, v17
	v_cmp_lt_u32_e64 s2, 3, v17
	;; [unrolled: 1-line block ×3, first 2 shown]
	v_cndmask_b32_e64 v19, v19, 0, s0
	s_delay_alu instid0(VALU_DEP_1) | instskip(NEXT) | instid1(VALU_DEP_1)
	v_add_nc_u32_e32 v7, v19, v7
	v_mov_b32_dpp v19, v7 row_shr:2 row_mask:0xf bank_mask:0xf
	s_delay_alu instid0(VALU_DEP_1) | instskip(NEXT) | instid1(VALU_DEP_1)
	v_cndmask_b32_e64 v19, 0, v19, s1
	v_add_nc_u32_e32 v7, v7, v19
	s_delay_alu instid0(VALU_DEP_1) | instskip(NEXT) | instid1(VALU_DEP_1)
	v_mov_b32_dpp v19, v7 row_shr:4 row_mask:0xf bank_mask:0xf
	v_cndmask_b32_e64 v19, 0, v19, s2
	s_delay_alu instid0(VALU_DEP_1) | instskip(NEXT) | instid1(VALU_DEP_1)
	v_add_nc_u32_e32 v7, v7, v19
	v_mov_b32_dpp v19, v7 row_shr:8 row_mask:0xf bank_mask:0xf
	s_delay_alu instid0(VALU_DEP_1) | instskip(SKIP_1) | instid1(VALU_DEP_2)
	v_cndmask_b32_e64 v17, 0, v19, s3
	v_bfe_i32 v19, v18, 4, 1
	v_add_nc_u32_e32 v7, v7, v17
	ds_swizzle_b32 v17, v7 offset:swizzle(BROADCAST,32,15)
	s_waitcnt lgkmcnt(0)
	v_and_b32_e32 v17, v19, v17
	v_lshlrev_b32_e32 v19, 2, v14
	s_delay_alu instid0(VALU_DEP_2)
	v_add_nc_u32_e32 v20, v7, v17
	s_and_saveexec_b32 s4, s6
	s_cbranch_execz .LBB0_4
; %bb.3:
	ds_store_b32 v19, v20
.LBB0_4:
	s_or_b32 exec_lo, exec_lo, s4
	v_cmp_lt_u32_e64 s4, 31, v3
	v_cmp_gt_u32_e64 s7, 32, v3
	v_lshlrev_b32_e32 v14, 2, v3
	s_waitcnt lgkmcnt(0)
	s_barrier
	buffer_gl0_inv
	s_and_saveexec_b32 s8, s7
	s_cbranch_execz .LBB0_6
; %bb.5:
	ds_load_b32 v7, v14
	s_waitcnt lgkmcnt(0)
	v_mov_b32_dpp v17, v7 row_shr:1 row_mask:0xf bank_mask:0xf
	s_delay_alu instid0(VALU_DEP_1) | instskip(NEXT) | instid1(VALU_DEP_1)
	v_cndmask_b32_e64 v17, v17, 0, s0
	v_add_nc_u32_e32 v7, v17, v7
	s_delay_alu instid0(VALU_DEP_1) | instskip(NEXT) | instid1(VALU_DEP_1)
	v_mov_b32_dpp v17, v7 row_shr:2 row_mask:0xf bank_mask:0xf
	v_cndmask_b32_e64 v17, 0, v17, s1
	s_delay_alu instid0(VALU_DEP_1) | instskip(NEXT) | instid1(VALU_DEP_1)
	v_add_nc_u32_e32 v7, v7, v17
	v_mov_b32_dpp v17, v7 row_shr:4 row_mask:0xf bank_mask:0xf
	s_delay_alu instid0(VALU_DEP_1) | instskip(NEXT) | instid1(VALU_DEP_1)
	v_cndmask_b32_e64 v17, 0, v17, s2
	v_add_nc_u32_e32 v7, v7, v17
	s_delay_alu instid0(VALU_DEP_1) | instskip(NEXT) | instid1(VALU_DEP_1)
	v_mov_b32_dpp v17, v7 row_shr:8 row_mask:0xf bank_mask:0xf
	v_cndmask_b32_e64 v17, 0, v17, s3
	s_delay_alu instid0(VALU_DEP_1) | instskip(SKIP_3) | instid1(VALU_DEP_1)
	v_add_nc_u32_e32 v7, v7, v17
	ds_swizzle_b32 v17, v7 offset:swizzle(BROADCAST,32,15)
	s_waitcnt lgkmcnt(0)
	v_cndmask_b32_e64 v17, v17, 0, s5
	v_add_nc_u32_e32 v7, v7, v17
	ds_store_b32 v14, v7
.LBB0_6:
	s_or_b32 exec_lo, exec_lo, s8
	v_add_nc_u32_e32 v17, -4, v19
	v_mov_b32_e32 v7, 0
	v_mov_b32_e32 v23, 0
	s_waitcnt lgkmcnt(0)
	s_barrier
	buffer_gl0_inv
	s_and_saveexec_b32 s8, s4
	s_cbranch_execz .LBB0_8
; %bb.7:
	ds_load_b32 v23, v17
.LBB0_8:
	s_or_b32 exec_lo, exec_lo, s8
	v_add_nc_u32_e32 v24, -1, v18
	v_cmp_eq_u32_e64 s8, 0, v18
	s_waitcnt lgkmcnt(0)
	v_add_nc_u32_e32 v25, v23, v20
	s_delay_alu instid0(VALU_DEP_3) | instskip(SKIP_2) | instid1(VALU_DEP_2)
	v_cmp_gt_i32_e32 vcc_lo, 0, v24
	v_cndmask_b32_e32 v24, v24, v18, vcc_lo
	v_cmp_eq_u32_e32 vcc_lo, 0, v3
	v_lshlrev_b32_e32 v20, 2, v24
	ds_bpermute_b32 v24, v20, v25
	s_waitcnt lgkmcnt(0)
	v_cndmask_b32_e64 v23, v24, v23, s8
	s_delay_alu instid0(VALU_DEP_1) | instskip(NEXT) | instid1(VALU_DEP_1)
	v_cndmask_b32_e64 v23, v23, 0, vcc_lo
	v_add_nc_u32_e32 v10, v23, v10
	s_delay_alu instid0(VALU_DEP_1) | instskip(NEXT) | instid1(VALU_DEP_1)
	v_add_nc_u32_e32 v11, v10, v11
	v_add_nc_u32_e32 v8, v11, v8
	s_delay_alu instid0(VALU_DEP_1) | instskip(NEXT) | instid1(VALU_DEP_1)
	v_add_nc_u32_e32 v9, v8, v9
	;; [unrolled: 3-line block ×3, first 2 shown]
	v_add_nc_u32_e32 v6, v5, v6
	ds_store_2addr_b32 v12, v23, v10 offset0:32 offset1:33
	ds_store_2addr_b32 v13, v11, v8 offset0:2 offset1:3
	;; [unrolled: 1-line block ×4, first 2 shown]
	s_waitcnt lgkmcnt(0)
	s_barrier
	buffer_gl0_inv
	ds_load_b32 v4, v22 offset:128
	v_and_or_b32 v5, 0x3e0, v3, v18
	s_waitcnt lgkmcnt(0)
	s_barrier
	buffer_gl0_inv
	v_lshlrev_b32_e32 v5, 1, v5
	v_add_lshl_u32 v4, v4, v21, 1
	ds_store_b16 v4, v15
	s_waitcnt lgkmcnt(0)
	s_barrier
	buffer_gl0_inv
	ds_load_u16 v15, v5
	s_waitcnt lgkmcnt(0)
	s_barrier
	buffer_gl0_inv
	ds_store_2addr_b32 v12, v7, v7 offset0:32 offset1:33
	ds_store_2addr_b32 v13, v7, v7 offset0:2 offset1:3
	;; [unrolled: 1-line block ×4, first 2 shown]
	s_waitcnt lgkmcnt(0)
	s_barrier
	buffer_gl0_inv
	; wave barrier
	v_lshrrev_b16 v4, 8, v15
	s_delay_alu instid0(VALU_DEP_1) | instskip(NEXT) | instid1(VALU_DEP_1)
	v_and_b32_e32 v5, 0xffff, v4
	v_and_b32_e32 v4, 1, v5
	v_lshlrev_b32_e32 v6, 30, v5
	v_lshlrev_b32_e32 v8, 29, v5
	;; [unrolled: 1-line block ×4, first 2 shown]
	v_add_co_u32 v4, s9, v4, -1
	s_delay_alu instid0(VALU_DEP_1)
	v_cndmask_b32_e64 v10, 0, 1, s9
	v_not_b32_e32 v22, v6
	v_cmp_gt_i32_e64 s10, 0, v6
	v_not_b32_e32 v6, v8
	v_lshlrev_b32_e32 v18, 26, v5
	v_cmp_ne_u32_e64 s9, 0, v10
	v_ashrrev_i32_e32 v22, 31, v22
	v_lshlrev_b32_e32 v21, 25, v5
	v_ashrrev_i32_e32 v6, 31, v6
	v_lshlrev_b32_e32 v10, 24, v5
	v_xor_b32_e32 v4, s9, v4
	v_cmp_gt_i32_e64 s9, 0, v8
	v_not_b32_e32 v8, v9
	v_xor_b32_e32 v22, s10, v22
	v_cmp_gt_i32_e64 s10, 0, v9
	v_and_b32_e32 v4, exec_lo, v4
	v_not_b32_e32 v9, v11
	v_ashrrev_i32_e32 v8, 31, v8
	v_xor_b32_e32 v6, s9, v6
	v_cmp_gt_i32_e64 s9, 0, v11
	v_and_b32_e32 v4, v4, v22
	v_not_b32_e32 v11, v18
	v_ashrrev_i32_e32 v9, 31, v9
	v_xor_b32_e32 v8, s10, v8
	v_cmp_gt_i32_e64 s10, 0, v18
	v_and_b32_e32 v4, v4, v6
	;; [unrolled: 5-line block ×4, first 2 shown]
	v_ashrrev_i32_e32 v8, 31, v8
	v_xor_b32_e32 v6, s9, v6
	v_lshlrev_b32_e32 v5, 5, v5
	v_cmp_ne_u32_e64 s9, 0, v3
	v_and_b32_e32 v4, v4, v11
	v_xor_b32_e32 v8, s10, v8
	s_delay_alu instid0(VALU_DEP_4) | instskip(NEXT) | instid1(VALU_DEP_3)
	v_add_lshl_u32 v16, v5, v16, 2
	v_and_b32_e32 v4, v4, v6
	s_delay_alu instid0(VALU_DEP_1) | instskip(NEXT) | instid1(VALU_DEP_1)
	v_and_b32_e32 v4, v4, v8
	v_mbcnt_lo_u32_b32 v18, v4, 0
	v_cmp_ne_u32_e64 s11, 0, v4
	s_delay_alu instid0(VALU_DEP_2) | instskip(NEXT) | instid1(VALU_DEP_1)
	v_cmp_eq_u32_e64 s10, 0, v18
	s_and_b32 s11, s11, s10
	s_delay_alu instid0(SALU_CYCLE_1)
	s_and_saveexec_b32 s10, s11
	s_cbranch_execz .LBB0_10
; %bb.9:
	v_bcnt_u32_b32 v4, v4, 0
	ds_store_b32 v16, v4 offset:128
.LBB0_10:
	s_or_b32 exec_lo, exec_lo, s10
	; wave barrier
	s_waitcnt lgkmcnt(0)
	s_barrier
	buffer_gl0_inv
	ds_load_2addr_b32 v[10:11], v12 offset0:32 offset1:33
	ds_load_2addr_b32 v[8:9], v13 offset0:2 offset1:3
	;; [unrolled: 1-line block ×4, first 2 shown]
	s_waitcnt lgkmcnt(3)
	v_add_nc_u32_e32 v21, v11, v10
	s_waitcnt lgkmcnt(2)
	s_delay_alu instid0(VALU_DEP_1) | instskip(SKIP_1) | instid1(VALU_DEP_1)
	v_add3_u32 v21, v21, v8, v9
	s_waitcnt lgkmcnt(1)
	v_add3_u32 v21, v21, v4, v5
	s_waitcnt lgkmcnt(0)
	s_delay_alu instid0(VALU_DEP_1) | instskip(NEXT) | instid1(VALU_DEP_1)
	v_add3_u32 v7, v21, v6, v7
	v_mov_b32_dpp v21, v7 row_shr:1 row_mask:0xf bank_mask:0xf
	s_delay_alu instid0(VALU_DEP_1) | instskip(NEXT) | instid1(VALU_DEP_1)
	v_cndmask_b32_e64 v21, v21, 0, s0
	v_add_nc_u32_e32 v7, v21, v7
	s_delay_alu instid0(VALU_DEP_1) | instskip(NEXT) | instid1(VALU_DEP_1)
	v_mov_b32_dpp v21, v7 row_shr:2 row_mask:0xf bank_mask:0xf
	v_cndmask_b32_e64 v21, 0, v21, s1
	s_delay_alu instid0(VALU_DEP_1) | instskip(NEXT) | instid1(VALU_DEP_1)
	v_add_nc_u32_e32 v7, v7, v21
	v_mov_b32_dpp v21, v7 row_shr:4 row_mask:0xf bank_mask:0xf
	s_delay_alu instid0(VALU_DEP_1) | instskip(NEXT) | instid1(VALU_DEP_1)
	v_cndmask_b32_e64 v21, 0, v21, s2
	v_add_nc_u32_e32 v7, v7, v21
	s_delay_alu instid0(VALU_DEP_1) | instskip(NEXT) | instid1(VALU_DEP_1)
	v_mov_b32_dpp v21, v7 row_shr:8 row_mask:0xf bank_mask:0xf
	v_cndmask_b32_e64 v21, 0, v21, s3
	s_delay_alu instid0(VALU_DEP_1) | instskip(SKIP_3) | instid1(VALU_DEP_1)
	v_add_nc_u32_e32 v7, v7, v21
	ds_swizzle_b32 v21, v7 offset:swizzle(BROADCAST,32,15)
	s_waitcnt lgkmcnt(0)
	v_cndmask_b32_e64 v21, v21, 0, s5
	v_add_nc_u32_e32 v7, v7, v21
	s_and_saveexec_b32 s10, s6
	s_cbranch_execz .LBB0_12
; %bb.11:
	ds_store_b32 v19, v7
.LBB0_12:
	s_or_b32 exec_lo, exec_lo, s10
	s_waitcnt lgkmcnt(0)
	s_barrier
	buffer_gl0_inv
	s_and_saveexec_b32 s6, s7
	s_cbranch_execz .LBB0_14
; %bb.13:
	ds_load_b32 v19, v14
	s_waitcnt lgkmcnt(0)
	v_mov_b32_dpp v21, v19 row_shr:1 row_mask:0xf bank_mask:0xf
	s_delay_alu instid0(VALU_DEP_1) | instskip(NEXT) | instid1(VALU_DEP_1)
	v_cndmask_b32_e64 v21, v21, 0, s0
	v_add_nc_u32_e32 v19, v21, v19
	s_delay_alu instid0(VALU_DEP_1) | instskip(NEXT) | instid1(VALU_DEP_1)
	v_mov_b32_dpp v21, v19 row_shr:2 row_mask:0xf bank_mask:0xf
	v_cndmask_b32_e64 v21, 0, v21, s1
	s_delay_alu instid0(VALU_DEP_1) | instskip(NEXT) | instid1(VALU_DEP_1)
	v_add_nc_u32_e32 v19, v19, v21
	v_mov_b32_dpp v21, v19 row_shr:4 row_mask:0xf bank_mask:0xf
	s_delay_alu instid0(VALU_DEP_1) | instskip(NEXT) | instid1(VALU_DEP_1)
	v_cndmask_b32_e64 v21, 0, v21, s2
	v_add_nc_u32_e32 v19, v19, v21
	s_delay_alu instid0(VALU_DEP_1) | instskip(NEXT) | instid1(VALU_DEP_1)
	v_mov_b32_dpp v21, v19 row_shr:8 row_mask:0xf bank_mask:0xf
	v_cndmask_b32_e64 v21, 0, v21, s3
	s_delay_alu instid0(VALU_DEP_1) | instskip(SKIP_3) | instid1(VALU_DEP_1)
	v_add_nc_u32_e32 v19, v19, v21
	ds_swizzle_b32 v21, v19 offset:swizzle(BROADCAST,32,15)
	s_waitcnt lgkmcnt(0)
	v_cndmask_b32_e64 v21, v21, 0, s5
	v_add_nc_u32_e32 v19, v19, v21
	ds_store_b32 v14, v19
.LBB0_14:
	s_or_b32 exec_lo, exec_lo, s6
	v_mov_b32_e32 v19, 0
	s_waitcnt lgkmcnt(0)
	s_barrier
	buffer_gl0_inv
	s_and_saveexec_b32 s0, s4
	s_cbranch_execz .LBB0_16
; %bb.15:
	ds_load_b32 v19, v17
.LBB0_16:
	s_or_b32 exec_lo, exec_lo, s0
	s_waitcnt lgkmcnt(0)
	v_add_nc_u32_e32 v7, v19, v7
	ds_bpermute_b32 v7, v20, v7
	s_waitcnt lgkmcnt(0)
	v_cndmask_b32_e64 v7, v7, v19, s8
	s_delay_alu instid0(VALU_DEP_1) | instskip(NEXT) | instid1(VALU_DEP_1)
	v_cndmask_b32_e64 v7, v7, 0, vcc_lo
	v_add_nc_u32_e32 v10, v7, v10
	s_delay_alu instid0(VALU_DEP_1) | instskip(NEXT) | instid1(VALU_DEP_1)
	v_add_nc_u32_e32 v11, v10, v11
	v_add_nc_u32_e32 v8, v11, v8
	s_delay_alu instid0(VALU_DEP_1) | instskip(NEXT) | instid1(VALU_DEP_1)
	v_add_nc_u32_e32 v9, v8, v9
	;; [unrolled: 3-line block ×3, first 2 shown]
	v_add_nc_u32_e32 v6, v5, v6
	ds_store_2addr_b32 v12, v7, v10 offset0:32 offset1:33
	ds_store_2addr_b32 v13, v11, v8 offset0:2 offset1:3
	;; [unrolled: 1-line block ×4, first 2 shown]
	v_mov_b32_e32 v5, 0x400
	s_waitcnt lgkmcnt(0)
	s_barrier
	buffer_gl0_inv
	ds_load_b32 v4, v16 offset:128
	s_waitcnt lgkmcnt(0)
	s_barrier
	buffer_gl0_inv
	v_add_lshl_u32 v4, v4, v18, 1
	ds_store_b16 v4, v15
	s_waitcnt lgkmcnt(0)
	s_barrier
	buffer_gl0_inv
	ds_load_u16 v4, v0
	s_waitcnt lgkmcnt(0)
	s_barrier
	buffer_gl0_inv
	ds_store_2addr_stride64_b32 v14, v5, v5 offset0:16 offset1:32
	s_waitcnt lgkmcnt(0)
	s_barrier
	buffer_gl0_inv
	ds_store_b16 v0, v4
	s_waitcnt lgkmcnt(0)
	s_barrier
	buffer_gl0_inv
	s_and_saveexec_b32 s1, s9
	s_cbranch_execz .LBB0_19
; %bb.17:
	v_add_nc_u32_e32 v5, -2, v0
	ds_load_u16 v5, v5
	s_waitcnt lgkmcnt(0)
	v_cmp_ne_u16_e64 s0, v5, v4
	s_delay_alu instid0(VALU_DEP_1)
	s_and_b32 exec_lo, exec_lo, s0
	s_cbranch_execz .LBB0_19
; %bb.18:
	v_and_b32_e32 v6, 0xffff, v4
	v_and_b32_e32 v5, 0xffff, v5
	s_delay_alu instid0(VALU_DEP_2) | instskip(NEXT) | instid1(VALU_DEP_2)
	v_lshlrev_b32_e32 v6, 2, v6
	v_lshlrev_b32_e32 v5, 2, v5
	ds_store_b32 v6, v3 offset:4096
	ds_store_b32 v5, v3 offset:8192
.LBB0_19:
	s_or_b32 exec_lo, exec_lo, s1
	v_add_nc_u32_e32 v0, 0x8080, v0
	s_waitcnt lgkmcnt(0)
	s_barrier
	buffer_gl0_inv
	s_and_saveexec_b32 s0, vcc_lo
	s_cbranch_execz .LBB0_21
; %bb.20:
	v_dual_mov_b32 v4, 0 :: v_dual_and_b32 v3, 0xffff, v4
	s_delay_alu instid0(VALU_DEP_1)
	v_lshlrev_b32_e32 v3, 2, v3
	ds_store_b32 v3, v4 offset:4096
.LBB0_21:
	s_or_b32 exec_lo, exec_lo, s0
	s_waitcnt lgkmcnt(0)
	s_barrier
	buffer_gl0_inv
	ds_load_2addr_stride64_b32 v[3:4], v14 offset0:16 offset1:32
	ds_load_u16 v5, v0
	s_waitcnt lgkmcnt(1)
	v_sub_nc_u32_e32 v3, v4, v3
	s_waitcnt lgkmcnt(0)
	s_delay_alu instid0(VALU_DEP_1)
	v_add_nc_u16 v3, v5, v3
	ds_store_b16 v0, v3
	s_waitcnt lgkmcnt(0)
	s_barrier
	buffer_gl0_inv
	ds_load_u16 v3, v0
	v_add_co_u32 v0, vcc_lo, s18, v1
	v_add_co_ci_u32_e32 v1, vcc_lo, s19, v2, vcc_lo
	s_waitcnt lgkmcnt(0)
	global_store_b16 v[0:1], v3, off
	s_nop 0
	s_sendmsg sendmsg(MSG_DEALLOC_VGPRS)
	s_endpgm
	.section	.rodata,"a",@progbits
	.p2align	6, 0x0
	.amdhsa_kernel _Z16histogram_kernelILj1024ELj1ELj1024ELN6hipcub23BlockHistogramAlgorithmE1EtEvPT3_S3_
		.amdhsa_group_segment_fixed_size 34944
		.amdhsa_private_segment_fixed_size 0
		.amdhsa_kernarg_size 272
		.amdhsa_user_sgpr_count 15
		.amdhsa_user_sgpr_dispatch_ptr 0
		.amdhsa_user_sgpr_queue_ptr 0
		.amdhsa_user_sgpr_kernarg_segment_ptr 1
		.amdhsa_user_sgpr_dispatch_id 0
		.amdhsa_user_sgpr_private_segment_size 0
		.amdhsa_wavefront_size32 1
		.amdhsa_uses_dynamic_stack 0
		.amdhsa_enable_private_segment 0
		.amdhsa_system_sgpr_workgroup_id_x 1
		.amdhsa_system_sgpr_workgroup_id_y 0
		.amdhsa_system_sgpr_workgroup_id_z 0
		.amdhsa_system_sgpr_workgroup_info 0
		.amdhsa_system_vgpr_workitem_id 2
		.amdhsa_next_free_vgpr 26
		.amdhsa_next_free_sgpr 20
		.amdhsa_reserve_vcc 1
		.amdhsa_float_round_mode_32 0
		.amdhsa_float_round_mode_16_64 0
		.amdhsa_float_denorm_mode_32 3
		.amdhsa_float_denorm_mode_16_64 3
		.amdhsa_dx10_clamp 1
		.amdhsa_ieee_mode 1
		.amdhsa_fp16_overflow 0
		.amdhsa_workgroup_processor_mode 1
		.amdhsa_memory_ordered 1
		.amdhsa_forward_progress 0
		.amdhsa_shared_vgpr_count 0
		.amdhsa_exception_fp_ieee_invalid_op 0
		.amdhsa_exception_fp_denorm_src 0
		.amdhsa_exception_fp_ieee_div_zero 0
		.amdhsa_exception_fp_ieee_overflow 0
		.amdhsa_exception_fp_ieee_underflow 0
		.amdhsa_exception_fp_ieee_inexact 0
		.amdhsa_exception_int_div_zero 0
	.end_amdhsa_kernel
	.section	.text._Z16histogram_kernelILj1024ELj1ELj1024ELN6hipcub23BlockHistogramAlgorithmE1EtEvPT3_S3_,"axG",@progbits,_Z16histogram_kernelILj1024ELj1ELj1024ELN6hipcub23BlockHistogramAlgorithmE1EtEvPT3_S3_,comdat
.Lfunc_end0:
	.size	_Z16histogram_kernelILj1024ELj1ELj1024ELN6hipcub23BlockHistogramAlgorithmE1EtEvPT3_S3_, .Lfunc_end0-_Z16histogram_kernelILj1024ELj1ELj1024ELN6hipcub23BlockHistogramAlgorithmE1EtEvPT3_S3_
                                        ; -- End function
	.section	.AMDGPU.csdata,"",@progbits
; Kernel info:
; codeLenInByte = 2764
; NumSgprs: 22
; NumVgprs: 26
; ScratchSize: 0
; MemoryBound: 0
; FloatMode: 240
; IeeeMode: 1
; LDSByteSize: 34944 bytes/workgroup (compile time only)
; SGPRBlocks: 2
; VGPRBlocks: 3
; NumSGPRsForWavesPerEU: 22
; NumVGPRsForWavesPerEU: 26
; Occupancy: 16
; WaveLimiterHint : 0
; COMPUTE_PGM_RSRC2:SCRATCH_EN: 0
; COMPUTE_PGM_RSRC2:USER_SGPR: 15
; COMPUTE_PGM_RSRC2:TRAP_HANDLER: 0
; COMPUTE_PGM_RSRC2:TGID_X_EN: 1
; COMPUTE_PGM_RSRC2:TGID_Y_EN: 0
; COMPUTE_PGM_RSRC2:TGID_Z_EN: 0
; COMPUTE_PGM_RSRC2:TIDIG_COMP_CNT: 2
	.section	.text._Z16histogram_kernelILj512ELj4ELj512ELN6hipcub23BlockHistogramAlgorithmE1EtEvPT3_S3_,"axG",@progbits,_Z16histogram_kernelILj512ELj4ELj512ELN6hipcub23BlockHistogramAlgorithmE1EtEvPT3_S3_,comdat
	.protected	_Z16histogram_kernelILj512ELj4ELj512ELN6hipcub23BlockHistogramAlgorithmE1EtEvPT3_S3_ ; -- Begin function _Z16histogram_kernelILj512ELj4ELj512ELN6hipcub23BlockHistogramAlgorithmE1EtEvPT3_S3_
	.globl	_Z16histogram_kernelILj512ELj4ELj512ELN6hipcub23BlockHistogramAlgorithmE1EtEvPT3_S3_
	.p2align	8
	.type	_Z16histogram_kernelILj512ELj4ELj512ELN6hipcub23BlockHistogramAlgorithmE1EtEvPT3_S3_,@function
_Z16histogram_kernelILj512ELj4ELj512ELN6hipcub23BlockHistogramAlgorithmE1EtEvPT3_S3_: ; @_Z16histogram_kernelILj512ELj4ELj512ELN6hipcub23BlockHistogramAlgorithmE1EtEvPT3_S3_
; %bb.0:
	v_and_b32_e32 v1, 0x3ff, v0
	s_load_b128 s[16:19], s[0:1], 0x0
	s_delay_alu instid0(VALU_DEP_1) | instskip(SKIP_1) | instid1(VALU_DEP_1)
	v_dual_mov_b32 v3, 0 :: v_dual_lshlrev_b32 v10, 1, v1
	v_lshlrev_b32_e32 v11, 2, v1
	v_lshl_or_b32 v2, s15, 11, v11
	s_delay_alu instid0(VALU_DEP_1) | instskip(SKIP_1) | instid1(VALU_DEP_1)
	v_lshlrev_b64 v[4:5], 1, v[2:3]
	s_waitcnt lgkmcnt(0)
	v_add_co_u32 v4, vcc_lo, s16, v4
	s_delay_alu instid0(VALU_DEP_2)
	v_add_co_ci_u32_e32 v5, vcc_lo, s17, v5, vcc_lo
	v_cmp_gt_u32_e32 vcc_lo, 0x200, v1
	global_load_b64 v[4:5], v[4:5], off
	s_and_saveexec_b32 s2, vcc_lo
	s_cbranch_execz .LBB1_2
; %bb.1:
	ds_store_b16 v10, v3 offset:16448
.LBB1_2:
	s_or_b32 exec_lo, exec_lo, s2
	v_mbcnt_lo_u32_b32 v14, -1, 0
	s_waitcnt vmcnt(0)
	v_and_b32_e32 v2, 0xffff, v4
	v_lshrrev_b32_e32 v4, 16, v4
	v_and_b32_e32 v7, 0xffff, v5
	v_lshrrev_b32_e32 v5, 16, v5
	v_and_b32_e32 v6, 28, v14
	v_and_b32_e32 v13, 3, v14
	s_waitcnt lgkmcnt(0)
	s_barrier
	buffer_gl0_inv
	ds_bpermute_b32 v8, v6, v2
	ds_bpermute_b32 v9, v6, v4
	;; [unrolled: 1-line block ×4, first 2 shown]
	v_cmp_eq_u32_e64 s2, 1, v13
	ds_bpermute_b32 v17, v6, v2 offset:32
	v_cmp_eq_u32_e64 s3, 2, v13
	ds_bpermute_b32 v16, v6, v4 offset:64
	;; [unrolled: 2-line block ×4, first 2 shown]
	ds_bpermute_b32 v13, v6, v5 offset:32
	s_waitcnt lgkmcnt(0)
	s_barrier
	buffer_gl0_inv
	s_load_b32 s6, s[0:1], 0x1c
	v_cndmask_b32_e64 v8, v8, v9, s2
	ds_bpermute_b32 v9, v6, v2 offset:64
	ds_bpermute_b32 v2, v6, v2 offset:96
	v_bfi_b32 v12, 0xffff, v12, v8
	v_and_b32_e32 v16, 0xffff, v16
	s_delay_alu instid0(VALU_DEP_2) | instskip(SKIP_3) | instid1(VALU_DEP_1)
	v_cndmask_b32_e64 v8, v8, v12, s3
	ds_bpermute_b32 v12, v6, v4 offset:32
	ds_bpermute_b32 v4, v6, v4 offset:96
	v_bfi_b32 v15, 0xffff, v15, v8
	v_cndmask_b32_e64 v8, v8, v15, s4
	ds_bpermute_b32 v15, v6, v7 offset:32
	s_waitcnt lgkmcnt(0)
	v_and_b32_e32 v9, 0xffff, v9
	v_perm_b32 v17, v17, v8, 0x5040100
	s_delay_alu instid0(VALU_DEP_2) | instskip(NEXT) | instid1(VALU_DEP_2)
	v_cndmask_b32_e64 v9, v9, v16, s2
	v_cndmask_b32_e64 v8, v8, v17, s5
	s_delay_alu instid0(VALU_DEP_2) | instskip(NEXT) | instid1(VALU_DEP_2)
	v_bfi_b32 v16, 0xffff, v18, v9
	v_perm_b32 v12, v12, v8, 0x5040100
	s_delay_alu instid0(VALU_DEP_2) | instskip(SKIP_1) | instid1(VALU_DEP_3)
	v_cndmask_b32_e64 v9, v9, v16, s3
	v_bfe_u32 v16, v0, 20, 10
	v_cndmask_b32_e64 v8, v8, v12, s2
	s_delay_alu instid0(VALU_DEP_3) | instskip(NEXT) | instid1(VALU_DEP_2)
	v_bfi_b32 v12, 0xffff, v19, v9
	v_perm_b32 v15, v15, v8, 0x5040100
	s_delay_alu instid0(VALU_DEP_2) | instskip(NEXT) | instid1(VALU_DEP_2)
	v_cndmask_b32_e64 v9, v9, v12, s4
	v_cndmask_b32_e64 v8, v8, v15, s3
	s_delay_alu instid0(VALU_DEP_2) | instskip(NEXT) | instid1(VALU_DEP_2)
	v_perm_b32 v2, v2, v9, 0x5040100
	v_perm_b32 v12, v13, v8, 0x5040100
	v_bfe_u32 v13, v0, 10, 10
	s_delay_alu instid0(VALU_DEP_3)
	v_cndmask_b32_e64 v0, v9, v2, s5
	ds_bpermute_b32 v2, v6, v7 offset:96
	ds_bpermute_b32 v6, v6, v5 offset:96
	v_cndmask_b32_e64 v15, v8, v12, s4
	s_lshr_b32 s5, s6, 16
	v_perm_b32 v4, v4, v0, 0x5040100
	s_delay_alu instid0(VALU_DEP_2)
	v_and_b32_e32 v5, 1, v15
	v_lshlrev_b32_e32 v7, 30, v15
	v_lshlrev_b32_e32 v8, 29, v15
	v_lshlrev_b32_e32 v9, 28, v15
	v_lshlrev_b32_e32 v17, 27, v15
	v_add_co_u32 v5, s0, v5, -1
	s_delay_alu instid0(VALU_DEP_1)
	v_cndmask_b32_e64 v12, 0, 1, s0
	v_not_b32_e32 v20, v7
	v_cmp_gt_i32_e64 s1, 0, v7
	v_not_b32_e32 v7, v8
	v_lshlrev_b32_e32 v18, 26, v15
	v_cmp_ne_u32_e64 s0, 0, v12
	v_ashrrev_i32_e32 v20, 31, v20
	v_lshlrev_b32_e32 v19, 25, v15
	v_ashrrev_i32_e32 v7, 31, v7
	v_lshlrev_b32_e32 v12, 24, v15
	v_xor_b32_e32 v5, s0, v5
	v_cmp_gt_i32_e64 s0, 0, v8
	v_not_b32_e32 v8, v9
	v_xor_b32_e32 v20, s1, v20
	v_cmp_gt_i32_e64 s1, 0, v9
	v_and_b32_e32 v5, exec_lo, v5
	v_not_b32_e32 v9, v17
	v_ashrrev_i32_e32 v8, 31, v8
	v_xor_b32_e32 v7, s0, v7
	v_cmp_gt_i32_e64 s0, 0, v17
	v_and_b32_e32 v5, v5, v20
	v_not_b32_e32 v17, v18
	v_ashrrev_i32_e32 v9, 31, v9
	v_xor_b32_e32 v8, s1, v8
	v_cmp_gt_i32_e64 s1, 0, v18
	v_and_b32_e32 v5, v5, v7
	v_not_b32_e32 v7, v19
	v_ashrrev_i32_e32 v17, 31, v17
	v_xor_b32_e32 v9, s0, v9
	v_cmp_gt_i32_e64 s0, 0, v19
	v_and_b32_e32 v5, v5, v8
	v_not_b32_e32 v8, v12
	v_ashrrev_i32_e32 v7, 31, v7
	v_xor_b32_e32 v17, s1, v17
	v_cmp_gt_i32_e64 s1, 0, v12
	v_and_b32_e32 v5, v5, v9
	v_cndmask_b32_e64 v9, v0, v4, s2
	v_ashrrev_i32_e32 v4, 31, v8
	v_xor_b32_e32 v7, s0, v7
	v_mad_u32_u24 v8, v16, s5, v13
	v_and_b32_e32 v5, v5, v17
	s_waitcnt lgkmcnt(1)
	v_perm_b32 v2, v2, v9, 0x5040100
	v_xor_b32_e32 v12, s1, v4
	v_lshlrev_b32_e32 v0, 5, v1
	s_and_b32 s0, s6, 0xffff
	v_and_b32_e32 v7, v5, v7
	v_mad_u64_u32 v[4:5], null, v8, s0, v[1:2]
	v_cndmask_b32_e64 v5, v9, v2, s3
	ds_store_2addr_b32 v0, v3, v3 offset0:16 offset1:17
	ds_store_2addr_b32 v0, v3, v3 offset0:18 offset1:19
	;; [unrolled: 1-line block ×4, first 2 shown]
	v_and_b32_e32 v2, v7, v12
	v_and_b32_e32 v3, 0xff, v15
	s_waitcnt lgkmcnt(0)
	v_perm_b32 v6, v6, v5, 0x5040100
	v_lshrrev_b32_e32 v12, 5, v4
	v_mbcnt_lo_u32_b32 v19, v2, 0
	v_lshlrev_b32_e32 v3, 4, v3
	v_cmp_ne_u32_e64 s1, 0, v2
	v_cndmask_b32_e64 v18, v5, v6, s4
	s_barrier
	v_cmp_eq_u32_e64 s0, 0, v19
	v_add_lshl_u32 v21, v3, v12, 2
	buffer_gl0_inv
	; wave barrier
	s_and_b32 s1, s0, s1
	s_delay_alu instid0(SALU_CYCLE_1)
	s_and_saveexec_b32 s0, s1
	s_cbranch_execz .LBB1_4
; %bb.3:
	v_bcnt_u32_b32 v2, v2, 0
	ds_store_b32 v21, v2 offset:64
.LBB1_4:
	s_or_b32 exec_lo, exec_lo, s0
	v_bfe_u32 v2, v15, 16, 1
	v_lshrrev_b32_e32 v22, 16, v15
	; wave barrier
	s_delay_alu instid0(VALU_DEP_2) | instskip(NEXT) | instid1(VALU_DEP_1)
	v_add_co_u32 v2, s0, v2, -1
	v_cndmask_b32_e64 v3, 0, 1, s0
	s_delay_alu instid0(VALU_DEP_3)
	v_lshlrev_b32_e32 v4, 30, v22
	v_lshlrev_b32_e32 v5, 29, v22
	;; [unrolled: 1-line block ×4, first 2 shown]
	v_cmp_ne_u32_e64 s0, 0, v3
	v_not_b32_e32 v3, v4
	v_cmp_gt_i32_e64 s1, 0, v4
	v_not_b32_e32 v4, v5
	v_lshlrev_b32_e32 v8, 26, v22
	v_xor_b32_e32 v2, s0, v2
	v_ashrrev_i32_e32 v3, 31, v3
	v_cmp_gt_i32_e64 s0, 0, v5
	v_not_b32_e32 v5, v6
	v_ashrrev_i32_e32 v4, 31, v4
	v_and_b32_e32 v2, exec_lo, v2
	v_xor_b32_e32 v3, s1, v3
	v_cmp_gt_i32_e64 s1, 0, v6
	v_not_b32_e32 v6, v7
	v_ashrrev_i32_e32 v5, 31, v5
	v_xor_b32_e32 v4, s0, v4
	v_and_b32_e32 v2, v2, v3
	v_cmp_gt_i32_e64 s0, 0, v7
	v_not_b32_e32 v3, v8
	v_ashrrev_i32_e32 v6, 31, v6
	v_xor_b32_e32 v5, s1, v5
	v_and_b32_e32 v2, v2, v4
	v_lshlrev_b32_e32 v4, 25, v22
	v_cmp_gt_i32_e64 s1, 0, v8
	v_ashrrev_i32_e32 v3, 31, v3
	v_xor_b32_e32 v6, s0, v6
	v_and_b32_e32 v2, v2, v5
	v_not_b32_e32 v7, v4
	v_lshlrev_b32_e32 v8, 24, v22
	v_lshrrev_b32_e32 v5, 12, v15
	v_xor_b32_e32 v3, s1, v3
	v_and_b32_e32 v2, v2, v6
	v_cmp_gt_i32_e64 s0, 0, v4
	v_ashrrev_i32_e32 v4, 31, v7
	v_not_b32_e32 v6, v8
	v_and_b32_e32 v5, 0xff0, v5
	v_and_b32_e32 v2, v2, v3
	s_delay_alu instid0(VALU_DEP_4) | instskip(SKIP_3) | instid1(VALU_DEP_4)
	v_xor_b32_e32 v3, s0, v4
	v_cmp_gt_i32_e64 s0, 0, v8
	v_ashrrev_i32_e32 v4, 31, v6
	v_add_lshl_u32 v23, v5, v12, 2
	v_and_b32_e32 v2, v2, v3
	s_delay_alu instid0(VALU_DEP_3) | instskip(SKIP_2) | instid1(VALU_DEP_1)
	v_xor_b32_e32 v3, s0, v4
	ds_load_b32 v24, v23 offset:64
	; wave barrier
	v_and_b32_e32 v2, v2, v3
	v_mbcnt_lo_u32_b32 v25, v2, 0
	v_cmp_ne_u32_e64 s1, 0, v2
	s_delay_alu instid0(VALU_DEP_2) | instskip(NEXT) | instid1(VALU_DEP_1)
	v_cmp_eq_u32_e64 s0, 0, v25
	s_and_b32 s1, s1, s0
	s_delay_alu instid0(SALU_CYCLE_1)
	s_and_saveexec_b32 s0, s1
	s_cbranch_execz .LBB1_6
; %bb.5:
	s_waitcnt lgkmcnt(0)
	v_bcnt_u32_b32 v2, v2, v24
	ds_store_b32 v23, v2 offset:64
.LBB1_6:
	s_or_b32 exec_lo, exec_lo, s0
	v_and_b32_e32 v2, 1, v18
	v_lshlrev_b32_e32 v4, 30, v18
	v_lshlrev_b32_e32 v6, 29, v18
	;; [unrolled: 1-line block ×4, first 2 shown]
	v_add_co_u32 v2, s0, v2, -1
	s_delay_alu instid0(VALU_DEP_1)
	v_cndmask_b32_e64 v5, 0, 1, s0
	v_not_b32_e32 v9, v4
	v_cmp_gt_i32_e64 s1, 0, v4
	v_not_b32_e32 v4, v6
	v_and_b32_e32 v3, 0xff, v18
	v_cmp_ne_u32_e64 s0, 0, v5
	v_ashrrev_i32_e32 v9, 31, v9
	v_lshlrev_b32_e32 v5, 26, v18
	v_ashrrev_i32_e32 v4, 31, v4
	v_lshlrev_b32_e32 v3, 4, v3
	v_xor_b32_e32 v2, s0, v2
	v_cmp_gt_i32_e64 s0, 0, v6
	v_not_b32_e32 v6, v7
	v_xor_b32_e32 v9, s1, v9
	v_cmp_gt_i32_e64 s1, 0, v7
	v_and_b32_e32 v2, exec_lo, v2
	v_not_b32_e32 v7, v8
	v_ashrrev_i32_e32 v6, 31, v6
	v_xor_b32_e32 v4, s0, v4
	v_cmp_gt_i32_e64 s0, 0, v8
	v_and_b32_e32 v2, v2, v9
	v_lshlrev_b32_e32 v9, 25, v18
	v_ashrrev_i32_e32 v7, 31, v7
	v_xor_b32_e32 v6, s1, v6
	v_not_b32_e32 v8, v5
	v_and_b32_e32 v2, v2, v4
	v_lshlrev_b32_e32 v4, 24, v18
	v_not_b32_e32 v13, v9
	v_xor_b32_e32 v7, s0, v7
	v_cmp_gt_i32_e64 s0, 0, v5
	v_and_b32_e32 v2, v2, v6
	v_ashrrev_i32_e32 v5, 31, v8
	v_cmp_gt_i32_e64 s1, 0, v9
	v_ashrrev_i32_e32 v6, 31, v13
	v_add_lshl_u32 v26, v3, v12, 2
	v_and_b32_e32 v2, v2, v7
	v_not_b32_e32 v7, v4
	v_xor_b32_e32 v5, s0, v5
	v_xor_b32_e32 v6, s1, v6
	v_cmp_gt_i32_e64 s0, 0, v4
	s_delay_alu instid0(VALU_DEP_4) | instskip(NEXT) | instid1(VALU_DEP_4)
	v_ashrrev_i32_e32 v4, 31, v7
	v_and_b32_e32 v2, v2, v5
	; wave barrier
	ds_load_b32 v27, v26 offset:64
	v_xor_b32_e32 v3, s0, v4
	v_and_b32_e32 v2, v2, v6
	; wave barrier
	s_delay_alu instid0(VALU_DEP_1) | instskip(SKIP_1) | instid1(VALU_DEP_2)
	v_and_b32_e32 v3, v2, v3
	v_and_b32_e32 v2, 0x3e0, v1
	v_mbcnt_lo_u32_b32 v28, v3, 0
	v_cmp_ne_u32_e64 s1, 0, v3
	s_delay_alu instid0(VALU_DEP_2) | instskip(NEXT) | instid1(VALU_DEP_1)
	v_cmp_eq_u32_e64 s0, 0, v28
	s_and_b32 s1, s1, s0
	s_delay_alu instid0(SALU_CYCLE_1)
	s_and_saveexec_b32 s0, s1
	s_cbranch_execz .LBB1_8
; %bb.7:
	s_waitcnt lgkmcnt(0)
	v_bcnt_u32_b32 v3, v3, v27
	ds_store_b32 v26, v3 offset:64
.LBB1_8:
	s_or_b32 exec_lo, exec_lo, s0
	v_bfe_u32 v3, v18, 16, 1
	v_lshrrev_b32_e32 v29, 16, v18
	; wave barrier
	v_add_nc_u32_e32 v13, 64, v0
	s_delay_alu instid0(VALU_DEP_3) | instskip(NEXT) | instid1(VALU_DEP_1)
	v_add_co_u32 v3, s0, v3, -1
	v_cndmask_b32_e64 v4, 0, 1, s0
	s_delay_alu instid0(VALU_DEP_4)
	v_lshlrev_b32_e32 v5, 30, v29
	v_lshlrev_b32_e32 v6, 29, v29
	;; [unrolled: 1-line block ×4, first 2 shown]
	v_cmp_ne_u32_e64 s0, 0, v4
	v_not_b32_e32 v4, v5
	v_cmp_gt_i32_e64 s1, 0, v5
	v_not_b32_e32 v5, v6
	v_lshlrev_b32_e32 v9, 26, v29
	v_xor_b32_e32 v3, s0, v3
	v_ashrrev_i32_e32 v4, 31, v4
	v_cmp_gt_i32_e64 s0, 0, v6
	v_not_b32_e32 v6, v7
	v_ashrrev_i32_e32 v5, 31, v5
	v_and_b32_e32 v3, exec_lo, v3
	v_xor_b32_e32 v4, s1, v4
	v_cmp_gt_i32_e64 s1, 0, v7
	v_not_b32_e32 v7, v8
	v_ashrrev_i32_e32 v6, 31, v6
	v_xor_b32_e32 v5, s0, v5
	v_and_b32_e32 v3, v3, v4
	v_cmp_gt_i32_e64 s0, 0, v8
	v_not_b32_e32 v4, v9
	v_ashrrev_i32_e32 v7, 31, v7
	v_xor_b32_e32 v6, s1, v6
	v_and_b32_e32 v3, v3, v5
	v_lshlrev_b32_e32 v5, 25, v29
	v_cmp_gt_i32_e64 s1, 0, v9
	v_ashrrev_i32_e32 v4, 31, v4
	v_xor_b32_e32 v7, s0, v7
	v_and_b32_e32 v3, v3, v6
	v_not_b32_e32 v8, v5
	v_lshlrev_b32_e32 v9, 24, v29
	v_lshrrev_b32_e32 v6, 12, v18
	v_xor_b32_e32 v4, s1, v4
	v_and_b32_e32 v3, v3, v7
	v_cmp_gt_i32_e64 s0, 0, v5
	v_ashrrev_i32_e32 v5, 31, v8
	v_not_b32_e32 v7, v9
	v_and_b32_e32 v6, 0xff0, v6
	v_and_b32_e32 v3, v3, v4
	v_lshrrev_b32_e32 v16, 5, v1
	v_xor_b32_e32 v4, s0, v5
	v_cmp_gt_i32_e64 s0, 0, v9
	v_ashrrev_i32_e32 v5, 31, v7
	v_add_lshl_u32 v30, v6, v12, 2
	v_min_u32_e32 v17, 0x1e0, v2
	v_and_b32_e32 v3, v3, v4
	s_delay_alu instid0(VALU_DEP_4) | instskip(SKIP_2) | instid1(VALU_DEP_1)
	v_xor_b32_e32 v4, s0, v5
	ds_load_b32 v31, v30 offset:64
	; wave barrier
	v_and_b32_e32 v3, v3, v4
	v_mbcnt_lo_u32_b32 v32, v3, 0
	v_cmp_ne_u32_e64 s1, 0, v3
	s_delay_alu instid0(VALU_DEP_2) | instskip(NEXT) | instid1(VALU_DEP_1)
	v_cmp_eq_u32_e64 s0, 0, v32
	s_and_b32 s1, s1, s0
	s_delay_alu instid0(SALU_CYCLE_1)
	s_and_saveexec_b32 s0, s1
	s_cbranch_execz .LBB1_10
; %bb.9:
	s_waitcnt lgkmcnt(0)
	v_bcnt_u32_b32 v2, v3, v31
	ds_store_b32 v30, v2 offset:64
.LBB1_10:
	s_or_b32 exec_lo, exec_lo, s0
	; wave barrier
	s_waitcnt lgkmcnt(0)
	s_barrier
	buffer_gl0_inv
	ds_load_2addr_b32 v[8:9], v0 offset0:16 offset1:17
	ds_load_2addr_b32 v[6:7], v13 offset0:2 offset1:3
	;; [unrolled: 1-line block ×4, first 2 shown]
	v_and_b32_e32 v34, 16, v14
	v_or_b32_e32 v17, 31, v17
	s_delay_alu instid0(VALU_DEP_2) | instskip(NEXT) | instid1(VALU_DEP_2)
	v_cmp_eq_u32_e64 s8, 0, v34
	v_cmp_eq_u32_e64 s6, v17, v1
	v_lshlrev_b32_e32 v17, 2, v16
	s_waitcnt lgkmcnt(3)
	v_add_nc_u32_e32 v20, v9, v8
	s_waitcnt lgkmcnt(2)
	s_delay_alu instid0(VALU_DEP_1) | instskip(SKIP_1) | instid1(VALU_DEP_1)
	v_add3_u32 v20, v20, v6, v7
	s_waitcnt lgkmcnt(1)
	v_add3_u32 v20, v20, v2, v3
	s_waitcnt lgkmcnt(0)
	s_delay_alu instid0(VALU_DEP_1) | instskip(SKIP_1) | instid1(VALU_DEP_2)
	v_add3_u32 v5, v20, v4, v5
	v_and_b32_e32 v20, 15, v14
	v_mov_b32_dpp v33, v5 row_shr:1 row_mask:0xf bank_mask:0xf
	s_delay_alu instid0(VALU_DEP_2) | instskip(SKIP_3) | instid1(VALU_DEP_4)
	v_cmp_eq_u32_e64 s1, 0, v20
	v_cmp_lt_u32_e64 s2, 1, v20
	v_cmp_lt_u32_e64 s3, 3, v20
	;; [unrolled: 1-line block ×3, first 2 shown]
	v_cndmask_b32_e64 v33, v33, 0, s1
	s_delay_alu instid0(VALU_DEP_1) | instskip(NEXT) | instid1(VALU_DEP_1)
	v_add_nc_u32_e32 v5, v33, v5
	v_mov_b32_dpp v33, v5 row_shr:2 row_mask:0xf bank_mask:0xf
	s_delay_alu instid0(VALU_DEP_1) | instskip(NEXT) | instid1(VALU_DEP_1)
	v_cndmask_b32_e64 v33, 0, v33, s2
	v_add_nc_u32_e32 v5, v5, v33
	s_delay_alu instid0(VALU_DEP_1) | instskip(NEXT) | instid1(VALU_DEP_1)
	v_mov_b32_dpp v33, v5 row_shr:4 row_mask:0xf bank_mask:0xf
	v_cndmask_b32_e64 v33, 0, v33, s3
	s_delay_alu instid0(VALU_DEP_1) | instskip(NEXT) | instid1(VALU_DEP_1)
	v_add_nc_u32_e32 v5, v5, v33
	v_mov_b32_dpp v33, v5 row_shr:8 row_mask:0xf bank_mask:0xf
	s_delay_alu instid0(VALU_DEP_1) | instskip(SKIP_1) | instid1(VALU_DEP_2)
	v_cndmask_b32_e64 v20, 0, v33, s4
	v_bfe_i32 v33, v14, 4, 1
	v_add_nc_u32_e32 v5, v5, v20
	ds_swizzle_b32 v20, v5 offset:swizzle(BROADCAST,32,15)
	s_waitcnt lgkmcnt(0)
	v_and_b32_e32 v20, v33, v20
	s_delay_alu instid0(VALU_DEP_1)
	v_add_nc_u32_e32 v20, v5, v20
	s_and_saveexec_b32 s0, s6
	s_cbranch_execz .LBB1_12
; %bb.11:
	ds_store_b32 v17, v20
.LBB1_12:
	s_or_b32 exec_lo, exec_lo, s0
	v_cmp_gt_u32_e64 s7, 16, v1
	s_waitcnt lgkmcnt(0)
	s_barrier
	buffer_gl0_inv
	s_and_saveexec_b32 s0, s7
	s_cbranch_execz .LBB1_14
; %bb.13:
	ds_load_b32 v5, v11
	s_waitcnt lgkmcnt(0)
	v_mov_b32_dpp v16, v5 row_shr:1 row_mask:0xf bank_mask:0xf
	s_delay_alu instid0(VALU_DEP_1) | instskip(NEXT) | instid1(VALU_DEP_1)
	v_cndmask_b32_e64 v16, v16, 0, s1
	v_add_nc_u32_e32 v5, v16, v5
	s_delay_alu instid0(VALU_DEP_1) | instskip(NEXT) | instid1(VALU_DEP_1)
	v_mov_b32_dpp v16, v5 row_shr:2 row_mask:0xf bank_mask:0xf
	v_cndmask_b32_e64 v16, 0, v16, s2
	s_delay_alu instid0(VALU_DEP_1) | instskip(NEXT) | instid1(VALU_DEP_1)
	v_add_nc_u32_e32 v5, v5, v16
	v_mov_b32_dpp v16, v5 row_shr:4 row_mask:0xf bank_mask:0xf
	s_delay_alu instid0(VALU_DEP_1) | instskip(NEXT) | instid1(VALU_DEP_1)
	v_cndmask_b32_e64 v16, 0, v16, s3
	v_add_nc_u32_e32 v5, v5, v16
	s_delay_alu instid0(VALU_DEP_1) | instskip(NEXT) | instid1(VALU_DEP_1)
	v_mov_b32_dpp v16, v5 row_shr:8 row_mask:0xf bank_mask:0xf
	v_cndmask_b32_e64 v16, 0, v16, s4
	s_delay_alu instid0(VALU_DEP_1)
	v_add_nc_u32_e32 v5, v5, v16
	ds_store_b32 v11, v5
.LBB1_14:
	s_or_b32 exec_lo, exec_lo, s0
	v_and_or_b32 v33, 0xf80, v11, v14
	v_cmp_lt_u32_e64 s5, 31, v1
	v_dual_mov_b32 v5, 0 :: v_dual_add_nc_u32 v16, -4, v17
	v_mov_b32_e32 v34, 0
	s_waitcnt lgkmcnt(0)
	s_barrier
	buffer_gl0_inv
	s_and_saveexec_b32 s0, s5
	s_cbranch_execz .LBB1_16
; %bb.15:
	ds_load_b32 v34, v16
.LBB1_16:
	s_or_b32 exec_lo, exec_lo, s0
	v_add_nc_u32_e32 v35, -1, v14
	s_waitcnt lgkmcnt(0)
	v_add_nc_u32_e32 v36, v34, v20
	v_cmp_eq_u32_e64 s9, 0, v14
	s_delay_alu instid0(VALU_DEP_3) | instskip(NEXT) | instid1(VALU_DEP_1)
	v_cmp_gt_i32_e64 s0, 0, v35
	v_cndmask_b32_e64 v35, v35, v14, s0
	v_cmp_eq_u32_e64 s0, 0, v1
	s_delay_alu instid0(VALU_DEP_2) | instskip(SKIP_3) | instid1(VALU_DEP_1)
	v_lshlrev_b32_e32 v20, 2, v35
	ds_bpermute_b32 v35, v20, v36
	s_waitcnt lgkmcnt(0)
	v_cndmask_b32_e64 v14, v35, v34, s9
	v_cndmask_b32_e64 v14, v14, 0, s0
	s_delay_alu instid0(VALU_DEP_1) | instskip(NEXT) | instid1(VALU_DEP_1)
	v_add_nc_u32_e32 v8, v14, v8
	v_add_nc_u32_e32 v9, v8, v9
	s_delay_alu instid0(VALU_DEP_1) | instskip(NEXT) | instid1(VALU_DEP_1)
	v_add_nc_u32_e32 v6, v9, v6
	v_add_nc_u32_e32 v7, v6, v7
	;; [unrolled: 3-line block ×3, first 2 shown]
	s_delay_alu instid0(VALU_DEP_1)
	v_add_nc_u32_e32 v4, v3, v4
	ds_store_2addr_b32 v0, v14, v8 offset0:16 offset1:17
	ds_store_2addr_b32 v13, v9, v6 offset0:2 offset1:3
	;; [unrolled: 1-line block ×4, first 2 shown]
	s_waitcnt lgkmcnt(0)
	s_barrier
	buffer_gl0_inv
	ds_load_b32 v2, v21 offset:64
	ds_load_b32 v3, v23 offset:64
	ds_load_b32 v4, v26 offset:64
	ds_load_b32 v6, v30 offset:64
	v_add_nc_u32_e32 v9, v25, v24
	v_add_nc_u32_e32 v8, v28, v27
	;; [unrolled: 1-line block ×3, first 2 shown]
	v_lshlrev_b32_e32 v21, 1, v33
	s_waitcnt lgkmcnt(0)
	s_barrier
	buffer_gl0_inv
	v_add_lshl_u32 v2, v2, v19, 1
	v_add_lshl_u32 v3, v9, v3, 1
	;; [unrolled: 1-line block ×4, first 2 shown]
	ds_store_b16 v2, v15
	ds_store_b16 v3, v22
	;; [unrolled: 1-line block ×4, first 2 shown]
	s_waitcnt lgkmcnt(0)
	s_barrier
	buffer_gl0_inv
	ds_load_u16 v14, v21
	ds_load_u16 v15, v21 offset:64
	ds_load_u16 v18, v21 offset:128
	;; [unrolled: 1-line block ×3, first 2 shown]
	s_waitcnt lgkmcnt(0)
	s_barrier
	buffer_gl0_inv
	ds_store_2addr_b32 v0, v5, v5 offset0:16 offset1:17
	ds_store_2addr_b32 v13, v5, v5 offset0:2 offset1:3
	;; [unrolled: 1-line block ×4, first 2 shown]
	s_waitcnt lgkmcnt(0)
	s_barrier
	buffer_gl0_inv
	; wave barrier
	v_lshrrev_b16 v2, 8, v14
	s_delay_alu instid0(VALU_DEP_1) | instskip(NEXT) | instid1(VALU_DEP_1)
	v_and_b32_e32 v3, 0xffff, v2
	v_and_b32_e32 v2, 1, v3
	v_lshlrev_b32_e32 v4, 30, v3
	v_lshlrev_b32_e32 v6, 29, v3
	;; [unrolled: 1-line block ×4, first 2 shown]
	v_add_co_u32 v2, s10, v2, -1
	s_delay_alu instid0(VALU_DEP_1)
	v_cndmask_b32_e64 v8, 0, 1, s10
	v_not_b32_e32 v23, v4
	v_cmp_gt_i32_e64 s11, 0, v4
	v_not_b32_e32 v4, v6
	v_lshlrev_b32_e32 v21, 26, v3
	v_cmp_ne_u32_e64 s10, 0, v8
	v_ashrrev_i32_e32 v23, 31, v23
	v_lshlrev_b32_e32 v22, 25, v3
	v_ashrrev_i32_e32 v4, 31, v4
	v_lshlrev_b32_e32 v8, 24, v3
	v_xor_b32_e32 v2, s10, v2
	v_cmp_gt_i32_e64 s10, 0, v6
	v_not_b32_e32 v6, v7
	v_xor_b32_e32 v23, s11, v23
	v_cmp_gt_i32_e64 s11, 0, v7
	v_and_b32_e32 v2, exec_lo, v2
	v_not_b32_e32 v7, v9
	v_ashrrev_i32_e32 v6, 31, v6
	v_xor_b32_e32 v4, s10, v4
	v_cmp_gt_i32_e64 s10, 0, v9
	v_and_b32_e32 v2, v2, v23
	v_not_b32_e32 v9, v21
	v_ashrrev_i32_e32 v7, 31, v7
	v_xor_b32_e32 v6, s11, v6
	v_cmp_gt_i32_e64 s11, 0, v21
	v_and_b32_e32 v2, v2, v4
	;; [unrolled: 5-line block ×4, first 2 shown]
	v_ashrrev_i32_e32 v6, 31, v6
	v_xor_b32_e32 v4, s10, v4
	v_lshlrev_b32_e32 v3, 4, v3
	v_cmp_ne_u32_e64 s10, 0, v1
	v_and_b32_e32 v2, v2, v9
	v_xor_b32_e32 v6, s11, v6
	s_delay_alu instid0(VALU_DEP_4) | instskip(NEXT) | instid1(VALU_DEP_3)
	v_add_lshl_u32 v22, v3, v12, 2
	v_and_b32_e32 v2, v2, v4
	s_delay_alu instid0(VALU_DEP_1) | instskip(NEXT) | instid1(VALU_DEP_1)
	v_and_b32_e32 v2, v2, v6
	v_mbcnt_lo_u32_b32 v21, v2, 0
	v_cmp_ne_u32_e64 s12, 0, v2
	s_delay_alu instid0(VALU_DEP_2) | instskip(NEXT) | instid1(VALU_DEP_1)
	v_cmp_eq_u32_e64 s11, 0, v21
	s_and_b32 s12, s12, s11
	s_delay_alu instid0(SALU_CYCLE_1)
	s_and_saveexec_b32 s11, s12
	s_cbranch_execz .LBB1_18
; %bb.17:
	v_bcnt_u32_b32 v2, v2, 0
	ds_store_b32 v22, v2 offset:64
.LBB1_18:
	s_or_b32 exec_lo, exec_lo, s11
	v_lshrrev_b16 v2, 8, v15
	; wave barrier
	s_delay_alu instid0(VALU_DEP_1) | instskip(NEXT) | instid1(VALU_DEP_1)
	v_and_b32_e32 v2, 0xffff, v2
	v_and_b32_e32 v3, 1, v2
	v_lshlrev_b32_e32 v4, 30, v2
	v_lshlrev_b32_e32 v5, 29, v2
	;; [unrolled: 1-line block ×4, first 2 shown]
	v_add_co_u32 v3, s11, v3, -1
	s_delay_alu instid0(VALU_DEP_1)
	v_cndmask_b32_e64 v7, 0, 1, s11
	v_not_b32_e32 v24, v4
	v_cmp_gt_i32_e64 s12, 0, v4
	v_not_b32_e32 v4, v5
	v_lshlrev_b32_e32 v9, 26, v2
	v_cmp_ne_u32_e64 s11, 0, v7
	v_ashrrev_i32_e32 v24, 31, v24
	v_lshlrev_b32_e32 v23, 25, v2
	v_ashrrev_i32_e32 v4, 31, v4
	v_lshlrev_b32_e32 v7, 24, v2
	v_xor_b32_e32 v3, s11, v3
	v_cmp_gt_i32_e64 s11, 0, v5
	v_not_b32_e32 v5, v6
	v_xor_b32_e32 v24, s12, v24
	v_cmp_gt_i32_e64 s12, 0, v6
	v_and_b32_e32 v3, exec_lo, v3
	v_not_b32_e32 v6, v8
	v_ashrrev_i32_e32 v5, 31, v5
	v_xor_b32_e32 v4, s11, v4
	v_cmp_gt_i32_e64 s11, 0, v8
	v_and_b32_e32 v3, v3, v24
	v_not_b32_e32 v8, v9
	v_ashrrev_i32_e32 v6, 31, v6
	v_xor_b32_e32 v5, s12, v5
	v_cmp_gt_i32_e64 s12, 0, v9
	v_and_b32_e32 v3, v3, v4
	v_not_b32_e32 v4, v23
	v_ashrrev_i32_e32 v8, 31, v8
	v_xor_b32_e32 v6, s11, v6
	v_cmp_gt_i32_e64 s11, 0, v23
	v_and_b32_e32 v3, v3, v5
	v_not_b32_e32 v5, v7
	v_ashrrev_i32_e32 v4, 31, v4
	v_xor_b32_e32 v8, s12, v8
	v_lshlrev_b32_e32 v2, 4, v2
	v_and_b32_e32 v3, v3, v6
	v_cmp_gt_i32_e64 s12, 0, v7
	v_ashrrev_i32_e32 v5, 31, v5
	v_xor_b32_e32 v4, s11, v4
	v_add_lshl_u32 v23, v2, v12, 2
	v_and_b32_e32 v3, v3, v8
	s_delay_alu instid0(VALU_DEP_4) | instskip(SKIP_2) | instid1(VALU_DEP_1)
	v_xor_b32_e32 v2, s12, v5
	ds_load_b32 v24, v23 offset:64
	v_and_b32_e32 v3, v3, v4
	; wave barrier
	v_and_b32_e32 v2, v3, v2
	s_delay_alu instid0(VALU_DEP_1) | instskip(SKIP_1) | instid1(VALU_DEP_2)
	v_mbcnt_lo_u32_b32 v25, v2, 0
	v_cmp_ne_u32_e64 s12, 0, v2
	v_cmp_eq_u32_e64 s11, 0, v25
	s_delay_alu instid0(VALU_DEP_1) | instskip(NEXT) | instid1(SALU_CYCLE_1)
	s_and_b32 s12, s12, s11
	s_and_saveexec_b32 s11, s12
	s_cbranch_execz .LBB1_20
; %bb.19:
	s_waitcnt lgkmcnt(0)
	v_bcnt_u32_b32 v2, v2, v24
	ds_store_b32 v23, v2 offset:64
.LBB1_20:
	s_or_b32 exec_lo, exec_lo, s11
	v_lshrrev_b16 v2, 8, v18
	; wave barrier
	s_delay_alu instid0(VALU_DEP_1) | instskip(NEXT) | instid1(VALU_DEP_1)
	v_and_b32_e32 v2, 0xffff, v2
	v_and_b32_e32 v3, 1, v2
	v_lshlrev_b32_e32 v4, 30, v2
	v_lshlrev_b32_e32 v5, 29, v2
	v_lshlrev_b32_e32 v6, 28, v2
	v_lshlrev_b32_e32 v8, 27, v2
	v_add_co_u32 v3, s11, v3, -1
	s_delay_alu instid0(VALU_DEP_1)
	v_cndmask_b32_e64 v7, 0, 1, s11
	v_not_b32_e32 v27, v4
	v_cmp_gt_i32_e64 s12, 0, v4
	v_not_b32_e32 v4, v5
	v_lshlrev_b32_e32 v9, 26, v2
	v_cmp_ne_u32_e64 s11, 0, v7
	v_ashrrev_i32_e32 v27, 31, v27
	v_lshlrev_b32_e32 v26, 25, v2
	v_ashrrev_i32_e32 v4, 31, v4
	v_lshlrev_b32_e32 v7, 24, v2
	v_xor_b32_e32 v3, s11, v3
	v_cmp_gt_i32_e64 s11, 0, v5
	v_not_b32_e32 v5, v6
	v_xor_b32_e32 v27, s12, v27
	v_cmp_gt_i32_e64 s12, 0, v6
	v_and_b32_e32 v3, exec_lo, v3
	v_not_b32_e32 v6, v8
	v_ashrrev_i32_e32 v5, 31, v5
	v_xor_b32_e32 v4, s11, v4
	v_cmp_gt_i32_e64 s11, 0, v8
	v_and_b32_e32 v3, v3, v27
	v_not_b32_e32 v8, v9
	v_ashrrev_i32_e32 v6, 31, v6
	v_xor_b32_e32 v5, s12, v5
	v_cmp_gt_i32_e64 s12, 0, v9
	v_and_b32_e32 v3, v3, v4
	;; [unrolled: 5-line block ×3, first 2 shown]
	v_not_b32_e32 v5, v7
	v_ashrrev_i32_e32 v4, 31, v4
	v_xor_b32_e32 v8, s12, v8
	v_lshlrev_b32_e32 v2, 4, v2
	v_and_b32_e32 v3, v3, v6
	v_cmp_gt_i32_e64 s12, 0, v7
	v_ashrrev_i32_e32 v5, 31, v5
	v_xor_b32_e32 v4, s11, v4
	v_add_lshl_u32 v26, v2, v12, 2
	v_and_b32_e32 v3, v3, v8
	s_delay_alu instid0(VALU_DEP_4) | instskip(SKIP_2) | instid1(VALU_DEP_1)
	v_xor_b32_e32 v2, s12, v5
	ds_load_b32 v27, v26 offset:64
	v_and_b32_e32 v3, v3, v4
	; wave barrier
	v_and_b32_e32 v2, v3, v2
	s_delay_alu instid0(VALU_DEP_1) | instskip(SKIP_1) | instid1(VALU_DEP_2)
	v_mbcnt_lo_u32_b32 v28, v2, 0
	v_cmp_ne_u32_e64 s12, 0, v2
	v_cmp_eq_u32_e64 s11, 0, v28
	s_delay_alu instid0(VALU_DEP_1) | instskip(NEXT) | instid1(SALU_CYCLE_1)
	s_and_b32 s12, s12, s11
	s_and_saveexec_b32 s11, s12
	s_cbranch_execz .LBB1_22
; %bb.21:
	s_waitcnt lgkmcnt(0)
	v_bcnt_u32_b32 v2, v2, v27
	ds_store_b32 v26, v2 offset:64
.LBB1_22:
	s_or_b32 exec_lo, exec_lo, s11
	v_lshrrev_b16 v2, 8, v19
	; wave barrier
	s_delay_alu instid0(VALU_DEP_1) | instskip(NEXT) | instid1(VALU_DEP_1)
	v_and_b32_e32 v2, 0xffff, v2
	v_and_b32_e32 v3, 1, v2
	v_lshlrev_b32_e32 v4, 30, v2
	v_lshlrev_b32_e32 v5, 29, v2
	;; [unrolled: 1-line block ×4, first 2 shown]
	v_add_co_u32 v3, s11, v3, -1
	s_delay_alu instid0(VALU_DEP_1)
	v_cndmask_b32_e64 v7, 0, 1, s11
	v_not_b32_e32 v30, v4
	v_cmp_gt_i32_e64 s12, 0, v4
	v_not_b32_e32 v4, v5
	v_lshlrev_b32_e32 v9, 26, v2
	v_cmp_ne_u32_e64 s11, 0, v7
	v_ashrrev_i32_e32 v30, 31, v30
	v_lshlrev_b32_e32 v29, 25, v2
	v_ashrrev_i32_e32 v4, 31, v4
	v_lshlrev_b32_e32 v7, 24, v2
	v_xor_b32_e32 v3, s11, v3
	v_cmp_gt_i32_e64 s11, 0, v5
	v_not_b32_e32 v5, v6
	v_xor_b32_e32 v30, s12, v30
	v_cmp_gt_i32_e64 s12, 0, v6
	v_and_b32_e32 v3, exec_lo, v3
	v_not_b32_e32 v6, v8
	v_ashrrev_i32_e32 v5, 31, v5
	v_xor_b32_e32 v4, s11, v4
	v_cmp_gt_i32_e64 s11, 0, v8
	v_and_b32_e32 v3, v3, v30
	v_not_b32_e32 v8, v9
	v_ashrrev_i32_e32 v6, 31, v6
	v_xor_b32_e32 v5, s12, v5
	v_cmp_gt_i32_e64 s12, 0, v9
	v_and_b32_e32 v3, v3, v4
	;; [unrolled: 5-line block ×3, first 2 shown]
	v_not_b32_e32 v5, v7
	v_ashrrev_i32_e32 v4, 31, v4
	v_xor_b32_e32 v8, s12, v8
	v_lshlrev_b32_e32 v2, 4, v2
	v_and_b32_e32 v3, v3, v6
	v_cmp_gt_i32_e64 s12, 0, v7
	v_ashrrev_i32_e32 v5, 31, v5
	v_xor_b32_e32 v4, s11, v4
	v_add_lshl_u32 v12, v2, v12, 2
	v_and_b32_e32 v3, v3, v8
	s_delay_alu instid0(VALU_DEP_4) | instskip(SKIP_2) | instid1(VALU_DEP_1)
	v_xor_b32_e32 v2, s12, v5
	ds_load_b32 v29, v12 offset:64
	v_and_b32_e32 v3, v3, v4
	; wave barrier
	v_and_b32_e32 v2, v3, v2
	s_delay_alu instid0(VALU_DEP_1) | instskip(SKIP_1) | instid1(VALU_DEP_2)
	v_mbcnt_lo_u32_b32 v30, v2, 0
	v_cmp_ne_u32_e64 s12, 0, v2
	v_cmp_eq_u32_e64 s11, 0, v30
	s_delay_alu instid0(VALU_DEP_1) | instskip(NEXT) | instid1(SALU_CYCLE_1)
	s_and_b32 s12, s12, s11
	s_and_saveexec_b32 s11, s12
	s_cbranch_execz .LBB1_24
; %bb.23:
	s_waitcnt lgkmcnt(0)
	v_bcnt_u32_b32 v2, v2, v29
	ds_store_b32 v12, v2 offset:64
.LBB1_24:
	s_or_b32 exec_lo, exec_lo, s11
	; wave barrier
	s_waitcnt lgkmcnt(0)
	s_barrier
	buffer_gl0_inv
	ds_load_2addr_b32 v[8:9], v0 offset0:16 offset1:17
	ds_load_2addr_b32 v[6:7], v13 offset0:2 offset1:3
	;; [unrolled: 1-line block ×4, first 2 shown]
	s_waitcnt lgkmcnt(3)
	v_add_nc_u32_e32 v31, v9, v8
	s_waitcnt lgkmcnt(2)
	s_delay_alu instid0(VALU_DEP_1) | instskip(SKIP_1) | instid1(VALU_DEP_1)
	v_add3_u32 v31, v31, v6, v7
	s_waitcnt lgkmcnt(1)
	v_add3_u32 v31, v31, v2, v3
	s_waitcnt lgkmcnt(0)
	s_delay_alu instid0(VALU_DEP_1) | instskip(NEXT) | instid1(VALU_DEP_1)
	v_add3_u32 v5, v31, v4, v5
	v_mov_b32_dpp v31, v5 row_shr:1 row_mask:0xf bank_mask:0xf
	s_delay_alu instid0(VALU_DEP_1) | instskip(NEXT) | instid1(VALU_DEP_1)
	v_cndmask_b32_e64 v31, v31, 0, s1
	v_add_nc_u32_e32 v5, v31, v5
	s_delay_alu instid0(VALU_DEP_1) | instskip(NEXT) | instid1(VALU_DEP_1)
	v_mov_b32_dpp v31, v5 row_shr:2 row_mask:0xf bank_mask:0xf
	v_cndmask_b32_e64 v31, 0, v31, s2
	s_delay_alu instid0(VALU_DEP_1) | instskip(NEXT) | instid1(VALU_DEP_1)
	v_add_nc_u32_e32 v5, v5, v31
	v_mov_b32_dpp v31, v5 row_shr:4 row_mask:0xf bank_mask:0xf
	s_delay_alu instid0(VALU_DEP_1) | instskip(NEXT) | instid1(VALU_DEP_1)
	v_cndmask_b32_e64 v31, 0, v31, s3
	v_add_nc_u32_e32 v5, v5, v31
	s_delay_alu instid0(VALU_DEP_1) | instskip(NEXT) | instid1(VALU_DEP_1)
	v_mov_b32_dpp v31, v5 row_shr:8 row_mask:0xf bank_mask:0xf
	v_cndmask_b32_e64 v31, 0, v31, s4
	s_delay_alu instid0(VALU_DEP_1) | instskip(SKIP_3) | instid1(VALU_DEP_1)
	v_add_nc_u32_e32 v5, v5, v31
	ds_swizzle_b32 v31, v5 offset:swizzle(BROADCAST,32,15)
	s_waitcnt lgkmcnt(0)
	v_cndmask_b32_e64 v31, v31, 0, s8
	v_add_nc_u32_e32 v5, v5, v31
	s_and_saveexec_b32 s8, s6
	s_cbranch_execz .LBB1_26
; %bb.25:
	ds_store_b32 v17, v5
.LBB1_26:
	s_or_b32 exec_lo, exec_lo, s8
	s_waitcnt lgkmcnt(0)
	s_barrier
	buffer_gl0_inv
	s_and_saveexec_b32 s6, s7
	s_cbranch_execz .LBB1_28
; %bb.27:
	ds_load_b32 v17, v11
	s_waitcnt lgkmcnt(0)
	v_mov_b32_dpp v31, v17 row_shr:1 row_mask:0xf bank_mask:0xf
	s_delay_alu instid0(VALU_DEP_1) | instskip(NEXT) | instid1(VALU_DEP_1)
	v_cndmask_b32_e64 v31, v31, 0, s1
	v_add_nc_u32_e32 v17, v31, v17
	s_delay_alu instid0(VALU_DEP_1) | instskip(NEXT) | instid1(VALU_DEP_1)
	v_mov_b32_dpp v31, v17 row_shr:2 row_mask:0xf bank_mask:0xf
	v_cndmask_b32_e64 v31, 0, v31, s2
	s_delay_alu instid0(VALU_DEP_1) | instskip(NEXT) | instid1(VALU_DEP_1)
	v_add_nc_u32_e32 v17, v17, v31
	v_mov_b32_dpp v31, v17 row_shr:4 row_mask:0xf bank_mask:0xf
	s_delay_alu instid0(VALU_DEP_1) | instskip(NEXT) | instid1(VALU_DEP_1)
	v_cndmask_b32_e64 v31, 0, v31, s3
	v_add_nc_u32_e32 v17, v17, v31
	s_delay_alu instid0(VALU_DEP_1) | instskip(NEXT) | instid1(VALU_DEP_1)
	v_mov_b32_dpp v31, v17 row_shr:8 row_mask:0xf bank_mask:0xf
	v_cndmask_b32_e64 v31, 0, v31, s4
	s_delay_alu instid0(VALU_DEP_1)
	v_add_nc_u32_e32 v17, v17, v31
	ds_store_b32 v11, v17
.LBB1_28:
	s_or_b32 exec_lo, exec_lo, s6
	v_mov_b32_e32 v17, 0
	s_waitcnt lgkmcnt(0)
	s_barrier
	buffer_gl0_inv
	s_and_saveexec_b32 s1, s5
	s_cbranch_execz .LBB1_30
; %bb.29:
	ds_load_b32 v17, v16
.LBB1_30:
	s_or_b32 exec_lo, exec_lo, s1
	s_waitcnt lgkmcnt(0)
	v_add_nc_u32_e32 v5, v17, v5
	ds_bpermute_b32 v5, v20, v5
	s_waitcnt lgkmcnt(0)
	v_cndmask_b32_e64 v5, v5, v17, s9
	s_delay_alu instid0(VALU_DEP_1) | instskip(NEXT) | instid1(VALU_DEP_1)
	v_cndmask_b32_e64 v5, v5, 0, s0
	v_add_nc_u32_e32 v8, v5, v8
	s_delay_alu instid0(VALU_DEP_1) | instskip(NEXT) | instid1(VALU_DEP_1)
	v_add_nc_u32_e32 v9, v8, v9
	v_add_nc_u32_e32 v6, v9, v6
	s_delay_alu instid0(VALU_DEP_1) | instskip(NEXT) | instid1(VALU_DEP_1)
	v_add_nc_u32_e32 v7, v6, v7
	;; [unrolled: 3-line block ×3, first 2 shown]
	v_add_nc_u32_e32 v4, v3, v4
	ds_store_2addr_b32 v0, v5, v8 offset0:16 offset1:17
	ds_store_2addr_b32 v13, v9, v6 offset0:2 offset1:3
	;; [unrolled: 1-line block ×4, first 2 shown]
	s_waitcnt lgkmcnt(0)
	s_barrier
	buffer_gl0_inv
	ds_load_b32 v0, v22 offset:64
	ds_load_b32 v2, v23 offset:64
	;; [unrolled: 1-line block ×4, first 2 shown]
	v_add_nc_u32_e32 v7, v25, v24
	v_add_nc_u32_e32 v6, v28, v27
	;; [unrolled: 1-line block ×3, first 2 shown]
	v_lshlrev_b32_e32 v8, 1, v11
	s_waitcnt lgkmcnt(0)
	s_barrier
	buffer_gl0_inv
	v_add_lshl_u32 v0, v0, v21, 1
	v_add_lshl_u32 v2, v7, v2, 1
	;; [unrolled: 1-line block ×4, first 2 shown]
	ds_store_b16 v0, v14
	ds_store_b16 v2, v15
	;; [unrolled: 1-line block ×4, first 2 shown]
	s_waitcnt lgkmcnt(0)
	s_barrier
	buffer_gl0_inv
	ds_load_b64 v[2:3], v8
	s_waitcnt lgkmcnt(0)
	s_barrier
	buffer_gl0_inv
	s_and_saveexec_b32 s1, vcc_lo
	s_cbranch_execz .LBB1_32
; %bb.31:
	v_mov_b32_e32 v0, 0x800
	ds_store_2addr_stride64_b32 v11, v0, v0 offset0:8 offset1:16
.LBB1_32:
	s_or_b32 exec_lo, exec_lo, s1
	v_lshrrev_b32_e32 v4, 16, v3
	v_and_b32_e32 v0, 0xffff, v3
	s_mov_b32 s2, exec_lo
	s_waitcnt lgkmcnt(0)
	s_barrier
	buffer_gl0_inv
	ds_store_b16 v10, v4
	v_cmpx_ne_u16_e64 v3, v4
	s_cbranch_execz .LBB1_34
; %bb.33:
	v_and_b32_e32 v4, 0xffff, v4
	v_or_b32_e32 v5, 3, v11
	v_lshlrev_b32_e32 v6, 2, v0
	s_delay_alu instid0(VALU_DEP_3)
	v_lshlrev_b32_e32 v4, 2, v4
	ds_store_b32 v4, v5 offset:2048
	ds_store_b32 v6, v5 offset:4096
.LBB1_34:
	s_or_b32 exec_lo, exec_lo, s2
	v_lshrrev_b32_e32 v4, 16, v2
	s_delay_alu instid0(VALU_DEP_1) | instskip(SKIP_1) | instid1(VALU_DEP_2)
	v_cmp_ne_u16_e64 s1, v4, v3
	v_and_b32_e32 v3, 0xffff, v4
	s_and_saveexec_b32 s2, s1
	s_cbranch_execz .LBB1_36
; %bb.35:
	v_or_b32_e32 v5, 2, v11
	v_lshlrev_b32_e32 v0, 2, v0
	v_lshlrev_b32_e32 v6, 2, v3
	ds_store_b32 v0, v5 offset:2048
	ds_store_b32 v6, v5 offset:4096
.LBB1_36:
	s_or_b32 exec_lo, exec_lo, s2
	v_and_b32_e32 v0, 0xffff, v2
	s_mov_b32 s2, exec_lo
	v_cmpx_ne_u16_e64 v2, v4
	s_cbranch_execz .LBB1_38
; %bb.37:
	v_or_b32_e32 v4, 1, v11
	v_lshlrev_b32_e32 v3, 2, v3
	v_lshlrev_b32_e32 v5, 2, v0
	ds_store_b32 v3, v4 offset:2048
	ds_store_b32 v5, v4 offset:4096
.LBB1_38:
	s_or_b32 exec_lo, exec_lo, s2
	s_waitcnt lgkmcnt(0)
	s_barrier
	buffer_gl0_inv
	s_and_saveexec_b32 s2, s10
	s_cbranch_execz .LBB1_41
; %bb.39:
	v_add_nc_u32_e32 v3, -2, v10
	ds_load_u16 v3, v3
	s_waitcnt lgkmcnt(0)
	v_cmp_ne_u16_e64 s1, v3, v2
	s_delay_alu instid0(VALU_DEP_1)
	s_and_b32 exec_lo, exec_lo, s1
	s_cbranch_execz .LBB1_41
; %bb.40:
	v_and_b32_e32 v2, 0xffff, v3
	v_lshlrev_b32_e32 v3, 2, v0
	s_delay_alu instid0(VALU_DEP_2)
	v_lshlrev_b32_e32 v2, 2, v2
	ds_store_b32 v3, v11 offset:2048
	ds_store_b32 v2, v11 offset:4096
.LBB1_41:
	s_or_b32 exec_lo, exec_lo, s2
	s_waitcnt lgkmcnt(0)
	s_barrier
	buffer_gl0_inv
	s_and_saveexec_b32 s1, s0
	s_cbranch_execz .LBB1_43
; %bb.42:
	v_lshlrev_b32_e32 v0, 2, v0
	v_mov_b32_e32 v2, 0
	ds_store_b32 v0, v2 offset:2048
.LBB1_43:
	s_or_b32 exec_lo, exec_lo, s1
	s_waitcnt lgkmcnt(0)
	s_barrier
	buffer_gl0_inv
	s_and_saveexec_b32 s0, vcc_lo
	s_cbranch_execz .LBB1_45
; %bb.44:
	ds_load_2addr_stride64_b32 v[2:3], v11 offset0:8 offset1:16
	ds_load_u16 v0, v10 offset:16448
	s_waitcnt lgkmcnt(1)
	v_sub_nc_u32_e32 v2, v3, v2
	s_waitcnt lgkmcnt(0)
	s_delay_alu instid0(VALU_DEP_1)
	v_add_nc_u16 v0, v0, v2
	ds_store_b16 v10, v0 offset:16448
.LBB1_45:
	s_or_b32 exec_lo, exec_lo, s0
	s_waitcnt lgkmcnt(0)
	s_barrier
	buffer_gl0_inv
	s_and_saveexec_b32 s0, vcc_lo
	s_cbranch_execz .LBB1_47
; %bb.46:
	ds_load_u16 v2, v10 offset:16448
	v_lshl_or_b32 v0, s15, 9, v1
	v_mov_b32_e32 v1, 0
	s_delay_alu instid0(VALU_DEP_1) | instskip(NEXT) | instid1(VALU_DEP_1)
	v_lshlrev_b64 v[0:1], 1, v[0:1]
	v_add_co_u32 v0, vcc_lo, s18, v0
	s_delay_alu instid0(VALU_DEP_2)
	v_add_co_ci_u32_e32 v1, vcc_lo, s19, v1, vcc_lo
	s_waitcnt lgkmcnt(0)
	global_store_b16 v[0:1], v2, off
.LBB1_47:
	s_nop 0
	s_sendmsg sendmsg(MSG_DEALLOC_VGPRS)
	s_endpgm
	.section	.rodata,"a",@progbits
	.p2align	6, 0x0
	.amdhsa_kernel _Z16histogram_kernelILj512ELj4ELj512ELN6hipcub23BlockHistogramAlgorithmE1EtEvPT3_S3_
		.amdhsa_group_segment_fixed_size 17472
		.amdhsa_private_segment_fixed_size 0
		.amdhsa_kernarg_size 272
		.amdhsa_user_sgpr_count 15
		.amdhsa_user_sgpr_dispatch_ptr 0
		.amdhsa_user_sgpr_queue_ptr 0
		.amdhsa_user_sgpr_kernarg_segment_ptr 1
		.amdhsa_user_sgpr_dispatch_id 0
		.amdhsa_user_sgpr_private_segment_size 0
		.amdhsa_wavefront_size32 1
		.amdhsa_uses_dynamic_stack 0
		.amdhsa_enable_private_segment 0
		.amdhsa_system_sgpr_workgroup_id_x 1
		.amdhsa_system_sgpr_workgroup_id_y 0
		.amdhsa_system_sgpr_workgroup_id_z 0
		.amdhsa_system_sgpr_workgroup_info 0
		.amdhsa_system_vgpr_workitem_id 2
		.amdhsa_next_free_vgpr 37
		.amdhsa_next_free_sgpr 20
		.amdhsa_reserve_vcc 1
		.amdhsa_float_round_mode_32 0
		.amdhsa_float_round_mode_16_64 0
		.amdhsa_float_denorm_mode_32 3
		.amdhsa_float_denorm_mode_16_64 3
		.amdhsa_dx10_clamp 1
		.amdhsa_ieee_mode 1
		.amdhsa_fp16_overflow 0
		.amdhsa_workgroup_processor_mode 1
		.amdhsa_memory_ordered 1
		.amdhsa_forward_progress 0
		.amdhsa_shared_vgpr_count 0
		.amdhsa_exception_fp_ieee_invalid_op 0
		.amdhsa_exception_fp_denorm_src 0
		.amdhsa_exception_fp_ieee_div_zero 0
		.amdhsa_exception_fp_ieee_overflow 0
		.amdhsa_exception_fp_ieee_underflow 0
		.amdhsa_exception_fp_ieee_inexact 0
		.amdhsa_exception_int_div_zero 0
	.end_amdhsa_kernel
	.section	.text._Z16histogram_kernelILj512ELj4ELj512ELN6hipcub23BlockHistogramAlgorithmE1EtEvPT3_S3_,"axG",@progbits,_Z16histogram_kernelILj512ELj4ELj512ELN6hipcub23BlockHistogramAlgorithmE1EtEvPT3_S3_,comdat
.Lfunc_end1:
	.size	_Z16histogram_kernelILj512ELj4ELj512ELN6hipcub23BlockHistogramAlgorithmE1EtEvPT3_S3_, .Lfunc_end1-_Z16histogram_kernelILj512ELj4ELj512ELN6hipcub23BlockHistogramAlgorithmE1EtEvPT3_S3_
                                        ; -- End function
	.section	.AMDGPU.csdata,"",@progbits
; Kernel info:
; codeLenInByte = 5804
; NumSgprs: 22
; NumVgprs: 37
; ScratchSize: 0
; MemoryBound: 0
; FloatMode: 240
; IeeeMode: 1
; LDSByteSize: 17472 bytes/workgroup (compile time only)
; SGPRBlocks: 2
; VGPRBlocks: 4
; NumSGPRsForWavesPerEU: 22
; NumVGPRsForWavesPerEU: 37
; Occupancy: 16
; WaveLimiterHint : 0
; COMPUTE_PGM_RSRC2:SCRATCH_EN: 0
; COMPUTE_PGM_RSRC2:USER_SGPR: 15
; COMPUTE_PGM_RSRC2:TRAP_HANDLER: 0
; COMPUTE_PGM_RSRC2:TGID_X_EN: 1
; COMPUTE_PGM_RSRC2:TGID_Y_EN: 0
; COMPUTE_PGM_RSRC2:TGID_Z_EN: 0
; COMPUTE_PGM_RSRC2:TIDIG_COMP_CNT: 2
	.section	.text._Z16histogram_kernelILj256ELj3ELj512ELN6hipcub23BlockHistogramAlgorithmE1EtEvPT3_S3_,"axG",@progbits,_Z16histogram_kernelILj256ELj3ELj512ELN6hipcub23BlockHistogramAlgorithmE1EtEvPT3_S3_,comdat
	.protected	_Z16histogram_kernelILj256ELj3ELj512ELN6hipcub23BlockHistogramAlgorithmE1EtEvPT3_S3_ ; -- Begin function _Z16histogram_kernelILj256ELj3ELj512ELN6hipcub23BlockHistogramAlgorithmE1EtEvPT3_S3_
	.globl	_Z16histogram_kernelILj256ELj3ELj512ELN6hipcub23BlockHistogramAlgorithmE1EtEvPT3_S3_
	.p2align	8
	.type	_Z16histogram_kernelILj256ELj3ELj512ELN6hipcub23BlockHistogramAlgorithmE1EtEvPT3_S3_,@function
_Z16histogram_kernelILj256ELj3ELj512ELN6hipcub23BlockHistogramAlgorithmE1EtEvPT3_S3_: ; @_Z16histogram_kernelILj256ELj3ELj512ELN6hipcub23BlockHistogramAlgorithmE1EtEvPT3_S3_
; %bb.0:
	v_and_b32_e32 v1, 0x3ff, v0
	s_load_b128 s[16:19], s[0:1], 0x0
	s_delay_alu instid0(VALU_DEP_1) | instskip(SKIP_2) | instid1(VALU_DEP_3)
	v_lshl_or_b32 v2, s15, 8, v1
	v_cmp_gt_u32_e64 s2, 0x200, v1
	v_lshlrev_b32_e32 v10, 1, v1
	v_lshl_add_u32 v2, v2, 1, v2
	s_delay_alu instid0(VALU_DEP_1) | instskip(NEXT) | instid1(VALU_DEP_1)
	v_dual_mov_b32 v3, 0 :: v_dual_add_nc_u32 v4, 1, v2
	v_mov_b32_e32 v5, v3
	v_lshlrev_b64 v[6:7], 1, v[2:3]
	v_add_nc_u32_e32 v2, 2, v2
	s_delay_alu instid0(VALU_DEP_3) | instskip(NEXT) | instid1(VALU_DEP_2)
	v_lshlrev_b64 v[4:5], 1, v[4:5]
	v_lshlrev_b64 v[8:9], 1, v[2:3]
	s_waitcnt lgkmcnt(0)
	s_delay_alu instid0(VALU_DEP_4) | instskip(SKIP_1) | instid1(VALU_DEP_4)
	v_add_co_u32 v6, vcc_lo, s16, v6
	v_add_co_ci_u32_e32 v7, vcc_lo, s17, v7, vcc_lo
	v_add_co_u32 v4, vcc_lo, s16, v4
	v_add_co_ci_u32_e32 v5, vcc_lo, s17, v5, vcc_lo
	;; [unrolled: 2-line block ×3, first 2 shown]
	s_clause 0x2
	global_load_u16 v2, v[6:7], off
	global_load_u16 v4, v[4:5], off
	;; [unrolled: 1-line block ×3, first 2 shown]
	s_and_saveexec_b32 s3, s2
	s_cbranch_execz .LBB2_2
; %bb.1:
	ds_store_b16 v10, v3 offset:8224
.LBB2_2:
	s_or_b32 exec_lo, exec_lo, s3
	v_cmp_gt_u32_e32 vcc_lo, 0x100, v1
	s_and_saveexec_b32 s3, vcc_lo
	s_cbranch_execz .LBB2_4
; %bb.3:
	v_mov_b32_e32 v3, 0
	ds_store_b16 v10, v3 offset:8736
.LBB2_4:
	s_or_b32 exec_lo, exec_lo, s3
	v_lshrrev_b32_e32 v12, 5, v1
	v_mbcnt_lo_u32_b32 v17, -1, 0
	s_waitcnt vmcnt(0) lgkmcnt(0)
	s_barrier
	buffer_gl0_inv
	v_mul_u32_u24_e32 v3, 0x60, v12
	v_mul_u32_u24_e32 v6, 3, v17
	s_delay_alu instid0(VALU_DEP_2) | instskip(NEXT) | instid1(VALU_DEP_2)
	v_or_b32_e32 v7, v17, v3
	v_add_lshl_u32 v3, v6, v3, 1
	ds_store_b16 v3, v2
	ds_store_b16 v3, v4 offset:2
	ds_store_b16 v3, v5 offset:4
	v_lshlrev_b32_e32 v6, 1, v7
	; wave barrier
	ds_load_u16 v14, v6
	ds_load_u16 v15, v6 offset:64
	ds_load_u16 v16, v6 offset:128
	s_waitcnt lgkmcnt(0)
	s_barrier
	buffer_gl0_inv
	; wave barrier
	s_barrier
	buffer_gl0_inv
	s_load_b32 s3, s[0:1], 0x1c
	v_and_b32_e32 v2, 0xff, v14
	s_delay_alu instid0(VALU_DEP_1) | instskip(NEXT) | instid1(VALU_DEP_1)
	v_and_b32_e32 v5, 0xffff, v2
	v_and_b32_e32 v2, 1, v5
	v_lshlrev_b32_e32 v3, 30, v5
	v_lshlrev_b32_e32 v4, 29, v5
	;; [unrolled: 1-line block ×4, first 2 shown]
	v_add_co_u32 v2, s0, v2, -1
	s_delay_alu instid0(VALU_DEP_1)
	v_cndmask_b32_e64 v7, 0, 1, s0
	v_not_b32_e32 v13, v3
	v_cmp_gt_i32_e64 s1, 0, v3
	v_not_b32_e32 v3, v4
	v_lshlrev_b32_e32 v9, 26, v5
	v_cmp_ne_u32_e64 s0, 0, v7
	v_ashrrev_i32_e32 v13, 31, v13
	v_lshlrev_b32_e32 v11, 25, v5
	v_ashrrev_i32_e32 v3, 31, v3
	v_lshlrev_b32_e32 v7, 24, v5
	v_xor_b32_e32 v2, s0, v2
	v_cmp_gt_i32_e64 s0, 0, v4
	v_not_b32_e32 v4, v6
	v_xor_b32_e32 v13, s1, v13
	v_cmp_gt_i32_e64 s1, 0, v6
	v_and_b32_e32 v2, exec_lo, v2
	v_not_b32_e32 v6, v8
	v_ashrrev_i32_e32 v4, 31, v4
	v_xor_b32_e32 v3, s0, v3
	v_cmp_gt_i32_e64 s0, 0, v8
	v_and_b32_e32 v2, v2, v13
	v_not_b32_e32 v8, v9
	v_ashrrev_i32_e32 v6, 31, v6
	v_xor_b32_e32 v4, s1, v4
	v_cmp_gt_i32_e64 s1, 0, v9
	v_and_b32_e32 v2, v2, v3
	;; [unrolled: 5-line block ×4, first 2 shown]
	v_ashrrev_i32_e32 v4, 31, v4
	v_xor_b32_e32 v3, s0, v3
	v_bfe_u32 v6, v0, 10, 10
	v_bfe_u32 v7, v0, 20, 10
	v_and_b32_e32 v2, v2, v8
	v_xor_b32_e32 v4, s1, v4
	s_waitcnt lgkmcnt(0)
	s_lshr_b32 s0, s3, 16
	v_lshlrev_b32_e32 v0, 5, v1
	v_mad_u32_u24 v6, v7, s0, v6
	v_dual_mov_b32 v7, 0 :: v_dual_and_b32 v2, v2, v3
	s_and_b32 s0, s3, 0xffff
	ds_store_2addr_b32 v0, v7, v7 offset0:8 offset1:9
	ds_store_2addr_b32 v0, v7, v7 offset0:10 offset1:11
	;; [unrolled: 1-line block ×4, first 2 shown]
	v_and_b32_e32 v2, v2, v4
	s_waitcnt lgkmcnt(0)
	s_barrier
	buffer_gl0_inv
	v_mad_u64_u32 v[3:4], null, v6, s0, v[1:2]
	v_mbcnt_lo_u32_b32 v21, v2, 0
	v_lshlrev_b32_e32 v4, 3, v5
	v_cmp_ne_u32_e64 s1, 0, v2
	; wave barrier
	s_delay_alu instid0(VALU_DEP_3) | instskip(SKIP_1) | instid1(VALU_DEP_2)
	v_cmp_eq_u32_e64 s0, 0, v21
	v_lshrrev_b32_e32 v11, 5, v3
	s_and_b32 s1, s1, s0
	s_delay_alu instid0(VALU_DEP_1)
	v_add_lshl_u32 v22, v11, v4, 2
	s_and_saveexec_b32 s0, s1
	s_cbranch_execz .LBB2_6
; %bb.5:
	v_bcnt_u32_b32 v2, v2, 0
	ds_store_b32 v22, v2 offset:32
.LBB2_6:
	s_or_b32 exec_lo, exec_lo, s0
	v_and_b32_e32 v2, 0xff, v15
	; wave barrier
	v_and_b32_e32 v19, 0x3e0, v1
	s_delay_alu instid0(VALU_DEP_2) | instskip(NEXT) | instid1(VALU_DEP_1)
	v_and_b32_e32 v2, 0xffff, v2
	v_and_b32_e32 v3, 1, v2
	v_lshlrev_b32_e32 v4, 30, v2
	v_lshlrev_b32_e32 v5, 29, v2
	;; [unrolled: 1-line block ×4, first 2 shown]
	v_add_co_u32 v3, s0, v3, -1
	s_delay_alu instid0(VALU_DEP_1)
	v_cndmask_b32_e64 v7, 0, 1, s0
	v_not_b32_e32 v18, v4
	v_cmp_gt_i32_e64 s1, 0, v4
	v_not_b32_e32 v4, v5
	v_lshlrev_b32_e32 v9, 26, v2
	v_cmp_ne_u32_e64 s0, 0, v7
	v_ashrrev_i32_e32 v18, 31, v18
	v_lshlrev_b32_e32 v13, 25, v2
	v_ashrrev_i32_e32 v4, 31, v4
	v_lshlrev_b32_e32 v7, 24, v2
	v_xor_b32_e32 v3, s0, v3
	v_cmp_gt_i32_e64 s0, 0, v5
	v_not_b32_e32 v5, v6
	v_xor_b32_e32 v18, s1, v18
	v_cmp_gt_i32_e64 s1, 0, v6
	v_and_b32_e32 v3, exec_lo, v3
	v_not_b32_e32 v6, v8
	v_ashrrev_i32_e32 v5, 31, v5
	v_xor_b32_e32 v4, s0, v4
	v_cmp_gt_i32_e64 s0, 0, v8
	v_and_b32_e32 v3, v3, v18
	v_not_b32_e32 v8, v9
	v_ashrrev_i32_e32 v6, 31, v6
	v_xor_b32_e32 v5, s1, v5
	v_cmp_gt_i32_e64 s1, 0, v9
	v_and_b32_e32 v3, v3, v4
	;; [unrolled: 5-line block ×3, first 2 shown]
	v_not_b32_e32 v5, v7
	v_ashrrev_i32_e32 v4, 31, v4
	v_xor_b32_e32 v8, s1, v8
	v_lshlrev_b32_e32 v2, 3, v2
	v_and_b32_e32 v3, v3, v6
	v_cmp_gt_i32_e64 s1, 0, v7
	v_ashrrev_i32_e32 v5, 31, v5
	v_xor_b32_e32 v4, s0, v4
	v_add_lshl_u32 v23, v11, v2, 2
	v_and_b32_e32 v3, v3, v8
	s_delay_alu instid0(VALU_DEP_4) | instskip(SKIP_2) | instid1(VALU_DEP_1)
	v_xor_b32_e32 v2, s1, v5
	ds_load_b32 v24, v23 offset:32
	v_and_b32_e32 v3, v3, v4
	; wave barrier
	v_and_b32_e32 v2, v3, v2
	s_delay_alu instid0(VALU_DEP_1) | instskip(SKIP_1) | instid1(VALU_DEP_2)
	v_mbcnt_lo_u32_b32 v25, v2, 0
	v_cmp_ne_u32_e64 s1, 0, v2
	v_cmp_eq_u32_e64 s0, 0, v25
	s_delay_alu instid0(VALU_DEP_1) | instskip(NEXT) | instid1(SALU_CYCLE_1)
	s_and_b32 s1, s1, s0
	s_and_saveexec_b32 s0, s1
	s_cbranch_execz .LBB2_8
; %bb.7:
	s_waitcnt lgkmcnt(0)
	v_bcnt_u32_b32 v2, v2, v24
	ds_store_b32 v23, v2 offset:32
.LBB2_8:
	s_or_b32 exec_lo, exec_lo, s0
	v_and_b32_e32 v2, 0xff, v16
	; wave barrier
	s_delay_alu instid0(VALU_DEP_1) | instskip(NEXT) | instid1(VALU_DEP_1)
	v_and_b32_e32 v2, 0xffff, v2
	v_and_b32_e32 v3, 1, v2
	v_lshlrev_b32_e32 v4, 30, v2
	v_lshlrev_b32_e32 v5, 29, v2
	v_lshlrev_b32_e32 v6, 28, v2
	v_lshlrev_b32_e32 v8, 27, v2
	v_add_co_u32 v3, s0, v3, -1
	s_delay_alu instid0(VALU_DEP_1)
	v_cndmask_b32_e64 v7, 0, 1, s0
	v_not_b32_e32 v18, v4
	v_cmp_gt_i32_e64 s1, 0, v4
	v_not_b32_e32 v4, v5
	v_lshlrev_b32_e32 v9, 26, v2
	v_cmp_ne_u32_e64 s0, 0, v7
	v_ashrrev_i32_e32 v18, 31, v18
	v_lshlrev_b32_e32 v13, 25, v2
	v_ashrrev_i32_e32 v4, 31, v4
	v_lshlrev_b32_e32 v7, 24, v2
	v_xor_b32_e32 v3, s0, v3
	v_cmp_gt_i32_e64 s0, 0, v5
	v_not_b32_e32 v5, v6
	v_xor_b32_e32 v18, s1, v18
	v_cmp_gt_i32_e64 s1, 0, v6
	v_and_b32_e32 v3, exec_lo, v3
	v_not_b32_e32 v6, v8
	v_ashrrev_i32_e32 v5, 31, v5
	v_xor_b32_e32 v4, s0, v4
	v_cmp_gt_i32_e64 s0, 0, v8
	v_and_b32_e32 v3, v3, v18
	v_not_b32_e32 v8, v9
	v_ashrrev_i32_e32 v6, 31, v6
	v_xor_b32_e32 v5, s1, v5
	v_cmp_gt_i32_e64 s1, 0, v9
	v_and_b32_e32 v3, v3, v4
	;; [unrolled: 5-line block ×3, first 2 shown]
	v_not_b32_e32 v5, v7
	v_ashrrev_i32_e32 v4, 31, v4
	v_xor_b32_e32 v8, s1, v8
	v_lshlrev_b32_e32 v2, 3, v2
	v_and_b32_e32 v3, v3, v6
	v_cmp_gt_i32_e64 s1, 0, v7
	v_ashrrev_i32_e32 v5, 31, v5
	v_xor_b32_e32 v4, s0, v4
	v_add_lshl_u32 v26, v11, v2, 2
	v_and_b32_e32 v3, v3, v8
	v_add_nc_u32_e32 v13, 32, v0
	v_xor_b32_e32 v2, s1, v5
	v_min_u32_e32 v18, 0xe0, v19
	ds_load_b32 v27, v26 offset:32
	v_and_b32_e32 v3, v3, v4
	; wave barrier
	s_delay_alu instid0(VALU_DEP_1) | instskip(NEXT) | instid1(VALU_DEP_1)
	v_and_b32_e32 v2, v3, v2
	v_mbcnt_lo_u32_b32 v28, v2, 0
	v_cmp_ne_u32_e64 s1, 0, v2
	s_delay_alu instid0(VALU_DEP_2) | instskip(NEXT) | instid1(VALU_DEP_1)
	v_cmp_eq_u32_e64 s0, 0, v28
	s_and_b32 s1, s1, s0
	s_delay_alu instid0(SALU_CYCLE_1)
	s_and_saveexec_b32 s0, s1
	s_cbranch_execz .LBB2_10
; %bb.9:
	s_waitcnt lgkmcnt(0)
	v_bcnt_u32_b32 v2, v2, v27
	ds_store_b32 v26, v2 offset:32
.LBB2_10:
	s_or_b32 exec_lo, exec_lo, s0
	; wave barrier
	s_waitcnt lgkmcnt(0)
	s_barrier
	buffer_gl0_inv
	ds_load_2addr_b32 v[8:9], v0 offset0:8 offset1:9
	ds_load_2addr_b32 v[6:7], v13 offset0:2 offset1:3
	;; [unrolled: 1-line block ×4, first 2 shown]
	v_and_b32_e32 v30, 16, v17
	v_or_b32_e32 v18, 31, v18
	s_delay_alu instid0(VALU_DEP_2) | instskip(NEXT) | instid1(VALU_DEP_2)
	v_cmp_eq_u32_e64 s10, 0, v30
	v_cmp_eq_u32_e64 s8, v18, v1
	v_lshlrev_b32_e32 v18, 2, v12
	s_waitcnt lgkmcnt(3)
	v_add_nc_u32_e32 v20, v9, v8
	s_waitcnt lgkmcnt(2)
	s_delay_alu instid0(VALU_DEP_1) | instskip(SKIP_1) | instid1(VALU_DEP_1)
	v_add3_u32 v20, v20, v6, v7
	s_waitcnt lgkmcnt(1)
	v_add3_u32 v20, v20, v2, v3
	s_waitcnt lgkmcnt(0)
	s_delay_alu instid0(VALU_DEP_1) | instskip(SKIP_1) | instid1(VALU_DEP_2)
	v_add3_u32 v5, v20, v4, v5
	v_and_b32_e32 v20, 15, v17
	v_mov_b32_dpp v29, v5 row_shr:1 row_mask:0xf bank_mask:0xf
	s_delay_alu instid0(VALU_DEP_2) | instskip(SKIP_3) | instid1(VALU_DEP_4)
	v_cmp_eq_u32_e64 s1, 0, v20
	v_cmp_lt_u32_e64 s3, 1, v20
	v_cmp_lt_u32_e64 s4, 3, v20
	;; [unrolled: 1-line block ×3, first 2 shown]
	v_cndmask_b32_e64 v29, v29, 0, s1
	s_delay_alu instid0(VALU_DEP_1) | instskip(NEXT) | instid1(VALU_DEP_1)
	v_add_nc_u32_e32 v5, v29, v5
	v_mov_b32_dpp v29, v5 row_shr:2 row_mask:0xf bank_mask:0xf
	s_delay_alu instid0(VALU_DEP_1) | instskip(NEXT) | instid1(VALU_DEP_1)
	v_cndmask_b32_e64 v29, 0, v29, s3
	v_add_nc_u32_e32 v5, v5, v29
	s_delay_alu instid0(VALU_DEP_1) | instskip(NEXT) | instid1(VALU_DEP_1)
	v_mov_b32_dpp v29, v5 row_shr:4 row_mask:0xf bank_mask:0xf
	v_cndmask_b32_e64 v29, 0, v29, s4
	s_delay_alu instid0(VALU_DEP_1) | instskip(NEXT) | instid1(VALU_DEP_1)
	v_add_nc_u32_e32 v5, v5, v29
	v_mov_b32_dpp v29, v5 row_shr:8 row_mask:0xf bank_mask:0xf
	s_delay_alu instid0(VALU_DEP_1) | instskip(SKIP_1) | instid1(VALU_DEP_2)
	v_cndmask_b32_e64 v20, 0, v29, s6
	v_bfe_i32 v29, v17, 4, 1
	v_add_nc_u32_e32 v5, v5, v20
	ds_swizzle_b32 v20, v5 offset:swizzle(BROADCAST,32,15)
	s_waitcnt lgkmcnt(0)
	v_and_b32_e32 v20, v29, v20
	s_delay_alu instid0(VALU_DEP_1)
	v_add_nc_u32_e32 v20, v5, v20
	s_and_saveexec_b32 s0, s8
	s_cbranch_execz .LBB2_12
; %bb.11:
	ds_store_b32 v18, v20
.LBB2_12:
	s_or_b32 exec_lo, exec_lo, s0
	v_and_b32_e32 v29, 7, v17
	v_mul_u32_u24_e32 v5, 3, v19
	v_cmp_gt_u32_e64 s11, 8, v1
	v_lshlrev_b32_e32 v12, 2, v1
	s_waitcnt lgkmcnt(0)
	v_cmp_eq_u32_e64 s9, 0, v29
	v_cmp_lt_u32_e64 s7, 1, v29
	v_cmp_lt_u32_e64 s5, 3, v29
	s_barrier
	buffer_gl0_inv
	s_and_saveexec_b32 s0, s11
	s_cbranch_execz .LBB2_14
; %bb.13:
	ds_load_b32 v19, v12
	s_waitcnt lgkmcnt(0)
	v_mov_b32_dpp v29, v19 row_shr:1 row_mask:0xf bank_mask:0xf
	s_delay_alu instid0(VALU_DEP_1) | instskip(NEXT) | instid1(VALU_DEP_1)
	v_cndmask_b32_e64 v29, v29, 0, s9
	v_add_nc_u32_e32 v19, v29, v19
	s_delay_alu instid0(VALU_DEP_1) | instskip(NEXT) | instid1(VALU_DEP_1)
	v_mov_b32_dpp v29, v19 row_shr:2 row_mask:0xf bank_mask:0xf
	v_cndmask_b32_e64 v29, 0, v29, s7
	s_delay_alu instid0(VALU_DEP_1) | instskip(NEXT) | instid1(VALU_DEP_1)
	v_add_nc_u32_e32 v19, v19, v29
	v_mov_b32_dpp v29, v19 row_shr:4 row_mask:0xf bank_mask:0xf
	s_delay_alu instid0(VALU_DEP_1) | instskip(NEXT) | instid1(VALU_DEP_1)
	v_cndmask_b32_e64 v29, 0, v29, s5
	v_add_nc_u32_e32 v19, v19, v29
	ds_store_b32 v12, v19
.LBB2_14:
	s_or_b32 exec_lo, exec_lo, s0
	v_or_b32_e32 v29, v17, v5
	v_cmp_lt_u32_e64 s12, 31, v1
	v_dual_mov_b32 v30, 0 :: v_dual_add_nc_u32 v19, -4, v18
	v_mov_b32_e32 v5, 0
	s_waitcnt lgkmcnt(0)
	s_barrier
	buffer_gl0_inv
	s_and_saveexec_b32 s0, s12
	s_cbranch_execz .LBB2_16
; %bb.15:
	ds_load_b32 v30, v19
.LBB2_16:
	s_or_b32 exec_lo, exec_lo, s0
	v_add_nc_u32_e32 v31, -1, v17
	s_waitcnt lgkmcnt(0)
	v_add_nc_u32_e32 v32, v30, v20
	v_cmp_eq_u32_e64 s13, 0, v17
	s_delay_alu instid0(VALU_DEP_3) | instskip(NEXT) | instid1(VALU_DEP_1)
	v_cmp_gt_i32_e64 s0, 0, v31
	v_cndmask_b32_e64 v31, v31, v17, s0
	v_cmp_eq_u32_e64 s0, 0, v1
	s_delay_alu instid0(VALU_DEP_2) | instskip(SKIP_3) | instid1(VALU_DEP_1)
	v_lshlrev_b32_e32 v20, 2, v31
	ds_bpermute_b32 v31, v20, v32
	s_waitcnt lgkmcnt(0)
	v_cndmask_b32_e64 v17, v31, v30, s13
	v_cndmask_b32_e64 v17, v17, 0, s0
	s_delay_alu instid0(VALU_DEP_1) | instskip(NEXT) | instid1(VALU_DEP_1)
	v_add_nc_u32_e32 v8, v17, v8
	v_add_nc_u32_e32 v9, v8, v9
	s_delay_alu instid0(VALU_DEP_1) | instskip(NEXT) | instid1(VALU_DEP_1)
	v_add_nc_u32_e32 v6, v9, v6
	v_add_nc_u32_e32 v7, v6, v7
	;; [unrolled: 3-line block ×3, first 2 shown]
	s_delay_alu instid0(VALU_DEP_1)
	v_add_nc_u32_e32 v4, v3, v4
	ds_store_2addr_b32 v0, v17, v8 offset0:8 offset1:9
	ds_store_2addr_b32 v13, v9, v6 offset0:2 offset1:3
	;; [unrolled: 1-line block ×4, first 2 shown]
	s_waitcnt lgkmcnt(0)
	s_barrier
	buffer_gl0_inv
	ds_load_b32 v2, v22 offset:32
	ds_load_b32 v3, v23 offset:32
	;; [unrolled: 1-line block ×3, first 2 shown]
	v_add_nc_u32_e32 v6, v25, v24
	v_add_nc_u32_e32 v7, v28, v27
	v_lshlrev_b32_e32 v8, 1, v29
	s_waitcnt lgkmcnt(0)
	s_barrier
	buffer_gl0_inv
	v_add_lshl_u32 v2, v2, v21, 1
	v_add_lshl_u32 v3, v6, v3, 1
	;; [unrolled: 1-line block ×3, first 2 shown]
	ds_store_b16 v2, v14
	ds_store_b16 v3, v15
	;; [unrolled: 1-line block ×3, first 2 shown]
	s_waitcnt lgkmcnt(0)
	s_barrier
	buffer_gl0_inv
	ds_load_u16 v14, v8
	ds_load_u16 v15, v8 offset:64
	ds_load_u16 v16, v8 offset:128
	s_waitcnt lgkmcnt(0)
	s_barrier
	buffer_gl0_inv
	ds_store_2addr_b32 v0, v5, v5 offset0:8 offset1:9
	ds_store_2addr_b32 v13, v5, v5 offset0:2 offset1:3
	ds_store_2addr_b32 v13, v5, v5 offset0:4 offset1:5
	ds_store_2addr_b32 v13, v5, v5 offset0:6 offset1:7
	s_waitcnt lgkmcnt(0)
	s_barrier
	buffer_gl0_inv
	; wave barrier
	v_lshrrev_b16 v2, 8, v14
	s_delay_alu instid0(VALU_DEP_1) | instskip(NEXT) | instid1(VALU_DEP_1)
	v_and_b32_e32 v3, 0xffff, v2
	v_and_b32_e32 v2, 1, v3
	v_lshlrev_b32_e32 v4, 30, v3
	v_lshlrev_b32_e32 v6, 29, v3
	;; [unrolled: 1-line block ×4, first 2 shown]
	v_add_co_u32 v2, s14, v2, -1
	s_delay_alu instid0(VALU_DEP_1)
	v_cndmask_b32_e64 v8, 0, 1, s14
	v_not_b32_e32 v22, v4
	v_cmp_gt_i32_e64 s16, 0, v4
	v_not_b32_e32 v4, v6
	v_lshlrev_b32_e32 v17, 26, v3
	v_cmp_ne_u32_e64 s14, 0, v8
	v_ashrrev_i32_e32 v22, 31, v22
	v_lshlrev_b32_e32 v21, 25, v3
	v_ashrrev_i32_e32 v4, 31, v4
	v_lshlrev_b32_e32 v8, 24, v3
	v_xor_b32_e32 v2, s14, v2
	v_cmp_gt_i32_e64 s14, 0, v6
	v_not_b32_e32 v6, v7
	v_xor_b32_e32 v22, s16, v22
	v_cmp_gt_i32_e64 s16, 0, v7
	v_and_b32_e32 v2, exec_lo, v2
	v_not_b32_e32 v7, v9
	v_ashrrev_i32_e32 v6, 31, v6
	v_xor_b32_e32 v4, s14, v4
	v_cmp_gt_i32_e64 s14, 0, v9
	v_and_b32_e32 v2, v2, v22
	v_not_b32_e32 v9, v17
	v_ashrrev_i32_e32 v7, 31, v7
	v_xor_b32_e32 v6, s16, v6
	v_cmp_gt_i32_e64 s16, 0, v17
	v_and_b32_e32 v2, v2, v4
	;; [unrolled: 5-line block ×4, first 2 shown]
	v_ashrrev_i32_e32 v6, 31, v6
	v_xor_b32_e32 v4, s14, v4
	v_lshlrev_b32_e32 v3, 3, v3
	v_cmp_ne_u32_e64 s14, 0, v1
	v_and_b32_e32 v2, v2, v9
	v_xor_b32_e32 v6, s16, v6
	s_delay_alu instid0(VALU_DEP_4) | instskip(NEXT) | instid1(VALU_DEP_3)
	v_add_lshl_u32 v21, v3, v11, 2
	v_and_b32_e32 v2, v2, v4
	s_delay_alu instid0(VALU_DEP_1) | instskip(NEXT) | instid1(VALU_DEP_1)
	v_and_b32_e32 v2, v2, v6
	v_mbcnt_lo_u32_b32 v17, v2, 0
	v_cmp_ne_u32_e64 s17, 0, v2
	s_delay_alu instid0(VALU_DEP_2) | instskip(NEXT) | instid1(VALU_DEP_1)
	v_cmp_eq_u32_e64 s16, 0, v17
	s_and_b32 s17, s17, s16
	s_delay_alu instid0(SALU_CYCLE_1)
	s_and_saveexec_b32 s16, s17
	s_cbranch_execz .LBB2_18
; %bb.17:
	v_bcnt_u32_b32 v2, v2, 0
	ds_store_b32 v21, v2 offset:32
.LBB2_18:
	s_or_b32 exec_lo, exec_lo, s16
	v_lshrrev_b16 v2, 8, v15
	; wave barrier
	s_delay_alu instid0(VALU_DEP_1) | instskip(NEXT) | instid1(VALU_DEP_1)
	v_and_b32_e32 v2, 0xffff, v2
	v_and_b32_e32 v3, 1, v2
	v_lshlrev_b32_e32 v4, 30, v2
	v_lshlrev_b32_e32 v5, 29, v2
	;; [unrolled: 1-line block ×4, first 2 shown]
	v_add_co_u32 v3, s16, v3, -1
	s_delay_alu instid0(VALU_DEP_1)
	v_cndmask_b32_e64 v7, 0, 1, s16
	v_not_b32_e32 v23, v4
	v_cmp_gt_i32_e64 s17, 0, v4
	v_not_b32_e32 v4, v5
	v_lshlrev_b32_e32 v9, 26, v2
	v_cmp_ne_u32_e64 s16, 0, v7
	v_ashrrev_i32_e32 v23, 31, v23
	v_lshlrev_b32_e32 v22, 25, v2
	v_ashrrev_i32_e32 v4, 31, v4
	v_lshlrev_b32_e32 v7, 24, v2
	v_xor_b32_e32 v3, s16, v3
	v_cmp_gt_i32_e64 s16, 0, v5
	v_not_b32_e32 v5, v6
	v_xor_b32_e32 v23, s17, v23
	v_cmp_gt_i32_e64 s17, 0, v6
	v_and_b32_e32 v3, exec_lo, v3
	v_not_b32_e32 v6, v8
	v_ashrrev_i32_e32 v5, 31, v5
	v_xor_b32_e32 v4, s16, v4
	v_cmp_gt_i32_e64 s16, 0, v8
	v_and_b32_e32 v3, v3, v23
	v_not_b32_e32 v8, v9
	v_ashrrev_i32_e32 v6, 31, v6
	v_xor_b32_e32 v5, s17, v5
	v_cmp_gt_i32_e64 s17, 0, v9
	v_and_b32_e32 v3, v3, v4
	v_not_b32_e32 v4, v22
	v_ashrrev_i32_e32 v8, 31, v8
	v_xor_b32_e32 v6, s16, v6
	v_cmp_gt_i32_e64 s16, 0, v22
	v_and_b32_e32 v3, v3, v5
	v_not_b32_e32 v5, v7
	v_ashrrev_i32_e32 v4, 31, v4
	v_xor_b32_e32 v8, s17, v8
	v_lshlrev_b32_e32 v2, 3, v2
	v_and_b32_e32 v3, v3, v6
	v_cmp_gt_i32_e64 s17, 0, v7
	v_ashrrev_i32_e32 v5, 31, v5
	v_xor_b32_e32 v4, s16, v4
	v_add_lshl_u32 v24, v2, v11, 2
	v_and_b32_e32 v3, v3, v8
	s_delay_alu instid0(VALU_DEP_4) | instskip(SKIP_2) | instid1(VALU_DEP_1)
	v_xor_b32_e32 v2, s17, v5
	ds_load_b32 v22, v24 offset:32
	v_and_b32_e32 v3, v3, v4
	; wave barrier
	v_and_b32_e32 v2, v3, v2
	s_delay_alu instid0(VALU_DEP_1) | instskip(SKIP_1) | instid1(VALU_DEP_2)
	v_mbcnt_lo_u32_b32 v23, v2, 0
	v_cmp_ne_u32_e64 s17, 0, v2
	v_cmp_eq_u32_e64 s16, 0, v23
	s_delay_alu instid0(VALU_DEP_1) | instskip(NEXT) | instid1(SALU_CYCLE_1)
	s_and_b32 s17, s17, s16
	s_and_saveexec_b32 s16, s17
	s_cbranch_execz .LBB2_20
; %bb.19:
	s_waitcnt lgkmcnt(0)
	v_bcnt_u32_b32 v2, v2, v22
	ds_store_b32 v24, v2 offset:32
.LBB2_20:
	s_or_b32 exec_lo, exec_lo, s16
	v_lshrrev_b16 v2, 8, v16
	; wave barrier
	s_delay_alu instid0(VALU_DEP_1) | instskip(NEXT) | instid1(VALU_DEP_1)
	v_and_b32_e32 v2, 0xffff, v2
	v_and_b32_e32 v3, 1, v2
	v_lshlrev_b32_e32 v4, 30, v2
	v_lshlrev_b32_e32 v5, 29, v2
	;; [unrolled: 1-line block ×4, first 2 shown]
	v_add_co_u32 v3, s16, v3, -1
	s_delay_alu instid0(VALU_DEP_1)
	v_cndmask_b32_e64 v7, 0, 1, s16
	v_not_b32_e32 v26, v4
	v_cmp_gt_i32_e64 s17, 0, v4
	v_not_b32_e32 v4, v5
	v_lshlrev_b32_e32 v9, 26, v2
	v_cmp_ne_u32_e64 s16, 0, v7
	v_ashrrev_i32_e32 v26, 31, v26
	v_lshlrev_b32_e32 v25, 25, v2
	v_ashrrev_i32_e32 v4, 31, v4
	v_lshlrev_b32_e32 v7, 24, v2
	v_xor_b32_e32 v3, s16, v3
	v_cmp_gt_i32_e64 s16, 0, v5
	v_not_b32_e32 v5, v6
	v_xor_b32_e32 v26, s17, v26
	v_cmp_gt_i32_e64 s17, 0, v6
	v_and_b32_e32 v3, exec_lo, v3
	v_not_b32_e32 v6, v8
	v_ashrrev_i32_e32 v5, 31, v5
	v_xor_b32_e32 v4, s16, v4
	v_cmp_gt_i32_e64 s16, 0, v8
	v_and_b32_e32 v3, v3, v26
	v_not_b32_e32 v8, v9
	v_ashrrev_i32_e32 v6, 31, v6
	v_xor_b32_e32 v5, s17, v5
	v_cmp_gt_i32_e64 s17, 0, v9
	v_and_b32_e32 v3, v3, v4
	;; [unrolled: 5-line block ×3, first 2 shown]
	v_not_b32_e32 v5, v7
	v_ashrrev_i32_e32 v4, 31, v4
	v_xor_b32_e32 v8, s17, v8
	v_lshlrev_b32_e32 v2, 3, v2
	v_and_b32_e32 v3, v3, v6
	v_cmp_gt_i32_e64 s17, 0, v7
	v_ashrrev_i32_e32 v5, 31, v5
	v_xor_b32_e32 v4, s16, v4
	v_add_lshl_u32 v26, v2, v11, 2
	v_and_b32_e32 v3, v3, v8
	s_delay_alu instid0(VALU_DEP_4) | instskip(SKIP_2) | instid1(VALU_DEP_1)
	v_xor_b32_e32 v2, s17, v5
	ds_load_b32 v11, v26 offset:32
	v_and_b32_e32 v3, v3, v4
	; wave barrier
	v_and_b32_e32 v2, v3, v2
	s_delay_alu instid0(VALU_DEP_1) | instskip(SKIP_1) | instid1(VALU_DEP_2)
	v_mbcnt_lo_u32_b32 v25, v2, 0
	v_cmp_ne_u32_e64 s17, 0, v2
	v_cmp_eq_u32_e64 s16, 0, v25
	s_delay_alu instid0(VALU_DEP_1) | instskip(NEXT) | instid1(SALU_CYCLE_1)
	s_and_b32 s17, s17, s16
	s_and_saveexec_b32 s16, s17
	s_cbranch_execz .LBB2_22
; %bb.21:
	s_waitcnt lgkmcnt(0)
	v_bcnt_u32_b32 v2, v2, v11
	ds_store_b32 v26, v2 offset:32
.LBB2_22:
	s_or_b32 exec_lo, exec_lo, s16
	; wave barrier
	s_waitcnt lgkmcnt(0)
	s_barrier
	buffer_gl0_inv
	ds_load_2addr_b32 v[8:9], v0 offset0:8 offset1:9
	ds_load_2addr_b32 v[6:7], v13 offset0:2 offset1:3
	;; [unrolled: 1-line block ×4, first 2 shown]
	s_waitcnt lgkmcnt(3)
	v_add_nc_u32_e32 v27, v9, v8
	s_waitcnt lgkmcnt(2)
	s_delay_alu instid0(VALU_DEP_1) | instskip(SKIP_1) | instid1(VALU_DEP_1)
	v_add3_u32 v27, v27, v6, v7
	s_waitcnt lgkmcnt(1)
	v_add3_u32 v27, v27, v2, v3
	s_waitcnt lgkmcnt(0)
	s_delay_alu instid0(VALU_DEP_1) | instskip(NEXT) | instid1(VALU_DEP_1)
	v_add3_u32 v5, v27, v4, v5
	v_mov_b32_dpp v27, v5 row_shr:1 row_mask:0xf bank_mask:0xf
	s_delay_alu instid0(VALU_DEP_1) | instskip(NEXT) | instid1(VALU_DEP_1)
	v_cndmask_b32_e64 v27, v27, 0, s1
	v_add_nc_u32_e32 v5, v27, v5
	s_delay_alu instid0(VALU_DEP_1) | instskip(NEXT) | instid1(VALU_DEP_1)
	v_mov_b32_dpp v27, v5 row_shr:2 row_mask:0xf bank_mask:0xf
	v_cndmask_b32_e64 v27, 0, v27, s3
	s_delay_alu instid0(VALU_DEP_1) | instskip(NEXT) | instid1(VALU_DEP_1)
	v_add_nc_u32_e32 v5, v5, v27
	v_mov_b32_dpp v27, v5 row_shr:4 row_mask:0xf bank_mask:0xf
	s_delay_alu instid0(VALU_DEP_1) | instskip(NEXT) | instid1(VALU_DEP_1)
	v_cndmask_b32_e64 v27, 0, v27, s4
	v_add_nc_u32_e32 v5, v5, v27
	s_delay_alu instid0(VALU_DEP_1) | instskip(NEXT) | instid1(VALU_DEP_1)
	v_mov_b32_dpp v27, v5 row_shr:8 row_mask:0xf bank_mask:0xf
	v_cndmask_b32_e64 v27, 0, v27, s6
	s_delay_alu instid0(VALU_DEP_1) | instskip(SKIP_3) | instid1(VALU_DEP_1)
	v_add_nc_u32_e32 v5, v5, v27
	ds_swizzle_b32 v27, v5 offset:swizzle(BROADCAST,32,15)
	s_waitcnt lgkmcnt(0)
	v_cndmask_b32_e64 v27, v27, 0, s10
	v_add_nc_u32_e32 v5, v5, v27
	s_and_saveexec_b32 s1, s8
	s_cbranch_execz .LBB2_24
; %bb.23:
	ds_store_b32 v18, v5
.LBB2_24:
	s_or_b32 exec_lo, exec_lo, s1
	s_waitcnt lgkmcnt(0)
	s_barrier
	buffer_gl0_inv
	s_and_saveexec_b32 s1, s11
	s_cbranch_execz .LBB2_26
; %bb.25:
	ds_load_b32 v18, v12
	s_waitcnt lgkmcnt(0)
	v_mov_b32_dpp v27, v18 row_shr:1 row_mask:0xf bank_mask:0xf
	s_delay_alu instid0(VALU_DEP_1) | instskip(NEXT) | instid1(VALU_DEP_1)
	v_cndmask_b32_e64 v27, v27, 0, s9
	v_add_nc_u32_e32 v18, v27, v18
	s_delay_alu instid0(VALU_DEP_1) | instskip(NEXT) | instid1(VALU_DEP_1)
	v_mov_b32_dpp v27, v18 row_shr:2 row_mask:0xf bank_mask:0xf
	v_cndmask_b32_e64 v27, 0, v27, s7
	s_delay_alu instid0(VALU_DEP_1) | instskip(NEXT) | instid1(VALU_DEP_1)
	v_add_nc_u32_e32 v18, v18, v27
	v_mov_b32_dpp v27, v18 row_shr:4 row_mask:0xf bank_mask:0xf
	s_delay_alu instid0(VALU_DEP_1) | instskip(NEXT) | instid1(VALU_DEP_1)
	v_cndmask_b32_e64 v27, 0, v27, s5
	v_add_nc_u32_e32 v18, v18, v27
	ds_store_b32 v12, v18
.LBB2_26:
	s_or_b32 exec_lo, exec_lo, s1
	v_mov_b32_e32 v18, 0
	s_waitcnt lgkmcnt(0)
	s_barrier
	buffer_gl0_inv
	s_and_saveexec_b32 s1, s12
	s_cbranch_execz .LBB2_28
; %bb.27:
	ds_load_b32 v18, v19
.LBB2_28:
	s_or_b32 exec_lo, exec_lo, s1
	s_waitcnt lgkmcnt(0)
	v_add_nc_u32_e32 v5, v18, v5
	s_mov_b32 s3, 0
	ds_bpermute_b32 v5, v20, v5
	s_waitcnt lgkmcnt(0)
	v_cndmask_b32_e64 v5, v5, v18, s13
	s_delay_alu instid0(VALU_DEP_1) | instskip(NEXT) | instid1(VALU_DEP_1)
	v_cndmask_b32_e64 v5, v5, 0, s0
	v_add_nc_u32_e32 v8, v5, v8
	s_delay_alu instid0(VALU_DEP_1) | instskip(NEXT) | instid1(VALU_DEP_1)
	v_add_nc_u32_e32 v9, v8, v9
	v_add_nc_u32_e32 v6, v9, v6
	s_delay_alu instid0(VALU_DEP_1) | instskip(NEXT) | instid1(VALU_DEP_1)
	v_add_nc_u32_e32 v7, v6, v7
	;; [unrolled: 3-line block ×3, first 2 shown]
	v_add_nc_u32_e32 v4, v3, v4
	ds_store_2addr_b32 v0, v5, v8 offset0:8 offset1:9
	ds_store_2addr_b32 v13, v9, v6 offset0:2 offset1:3
	;; [unrolled: 1-line block ×4, first 2 shown]
	s_waitcnt lgkmcnt(0)
	s_barrier
	buffer_gl0_inv
	ds_load_b32 v2, v21 offset:32
	ds_load_b32 v3, v24 offset:32
	;; [unrolled: 1-line block ×3, first 2 shown]
	v_mul_u32_u24_e32 v0, 3, v1
	v_add_nc_u32_e32 v5, v23, v22
	v_add_nc_u32_e32 v6, v25, v11
	s_waitcnt lgkmcnt(0)
	s_barrier
	v_lshlrev_b32_e32 v7, 1, v0
	buffer_gl0_inv
	v_add_lshl_u32 v2, v2, v17, 1
	v_add_lshl_u32 v3, v5, v3, 1
	;; [unrolled: 1-line block ×3, first 2 shown]
	ds_store_b16 v2, v14
	ds_store_b16 v3, v15
	;; [unrolled: 1-line block ×3, first 2 shown]
	s_waitcnt lgkmcnt(0)
	s_barrier
	buffer_gl0_inv
	ds_load_u16 v2, v7
	ds_load_u16 v3, v7 offset:2
	ds_load_u16 v4, v7 offset:4
	s_waitcnt lgkmcnt(0)
	s_barrier
	buffer_gl0_inv
	s_and_saveexec_b32 s4, s2
	s_cbranch_execz .LBB2_31
; %bb.29:
	v_lshl_add_u32 v5, v1, 2, 0x400
	v_dual_mov_b32 v6, 0x300 :: v_dual_mov_b32 v7, v1
.LBB2_30:                               ; =>This Inner Loop Header: Depth=1
	s_delay_alu instid0(VALU_DEP_1) | instskip(SKIP_3) | instid1(VALU_DEP_1)
	v_add_nc_u32_e32 v7, 0x100, v7
	ds_store_2addr_stride64_b32 v5, v6, v6 offset1:8
	v_add_nc_u32_e32 v5, 0x400, v5
	v_cmp_lt_u32_e64 s1, 0x1ff, v7
	s_or_b32 s3, s1, s3
	s_delay_alu instid0(SALU_CYCLE_1)
	s_and_not1_b32 exec_lo, exec_lo, s3
	s_cbranch_execnz .LBB2_30
.LBB2_31:
	s_or_b32 exec_lo, exec_lo, s4
	v_and_b32_e32 v5, 0xffff, v3
	s_mov_b32 s3, exec_lo
	s_waitcnt lgkmcnt(0)
	s_barrier
	buffer_gl0_inv
	ds_store_b16 v10, v4
	v_cmpx_ne_u16_e64 v3, v4
	s_cbranch_execz .LBB2_33
; %bb.32:
	v_and_b32_e32 v4, 0xffff, v4
	v_add_nc_u32_e32 v6, 2, v0
	v_lshlrev_b32_e32 v7, 2, v5
	s_delay_alu instid0(VALU_DEP_3)
	v_lshlrev_b32_e32 v4, 2, v4
	ds_store_b32 v4, v6 offset:1024
	ds_store_b32 v7, v6 offset:3072
.LBB2_33:
	s_or_b32 exec_lo, exec_lo, s3
	v_cmp_ne_u16_e64 s1, v2, v3
	v_and_b32_e32 v3, 0xffff, v2
	s_delay_alu instid0(VALU_DEP_2)
	s_and_saveexec_b32 s3, s1
	s_cbranch_execz .LBB2_35
; %bb.34:
	v_add_nc_u32_e32 v4, 1, v0
	v_lshlrev_b32_e32 v5, 2, v5
	v_lshlrev_b32_e32 v6, 2, v3
	ds_store_b32 v5, v4 offset:1024
	ds_store_b32 v6, v4 offset:3072
.LBB2_35:
	s_or_b32 exec_lo, exec_lo, s3
	s_waitcnt lgkmcnt(0)
	s_barrier
	buffer_gl0_inv
	s_and_saveexec_b32 s3, s14
	s_cbranch_execz .LBB2_38
; %bb.36:
	v_add_nc_u32_e32 v4, -2, v10
	ds_load_u16 v5, v4
	s_waitcnt lgkmcnt(0)
	v_cmp_ne_u16_e64 s1, v5, v2
	s_delay_alu instid0(VALU_DEP_1)
	s_and_b32 exec_lo, exec_lo, s1
	s_cbranch_execz .LBB2_38
; %bb.37:
	v_lshlrev_b32_e32 v2, 2, v3
	ds_store_b32 v2, v0 offset:1024
	ds_load_u16 v2, v4
	s_waitcnt lgkmcnt(0)
	v_lshlrev_b32_e32 v2, 2, v2
	ds_store_b32 v2, v0 offset:3072
.LBB2_38:
	s_or_b32 exec_lo, exec_lo, s3
	s_waitcnt lgkmcnt(0)
	s_barrier
	buffer_gl0_inv
	s_and_saveexec_b32 s1, s0
	s_cbranch_execz .LBB2_40
; %bb.39:
	v_lshlrev_b32_e32 v0, 2, v3
	v_mov_b32_e32 v2, 0
	ds_store_b32 v0, v2 offset:1024
.LBB2_40:
	s_or_b32 exec_lo, exec_lo, s1
	s_waitcnt lgkmcnt(0)
	s_barrier
	buffer_gl0_inv
	s_and_saveexec_b32 s0, s2
	s_cbranch_execz .LBB2_42
; %bb.41:
	ds_load_2addr_stride64_b32 v[2:3], v12 offset0:4 offset1:12
	ds_load_u16 v0, v10 offset:8224
	s_waitcnt lgkmcnt(1)
	v_sub_nc_u32_e32 v2, v3, v2
	s_waitcnt lgkmcnt(0)
	s_delay_alu instid0(VALU_DEP_1)
	v_add_nc_u16 v0, v0, v2
	ds_store_b16 v10, v0 offset:8224
.LBB2_42:
	s_or_b32 exec_lo, exec_lo, s0
	s_and_saveexec_b32 s0, vcc_lo
	s_cbranch_execz .LBB2_44
; %bb.43:
	ds_load_2addr_stride64_b32 v[2:3], v12 offset0:8 offset1:16
	ds_load_u16 v0, v10 offset:8736
	s_waitcnt lgkmcnt(1)
	v_sub_nc_u32_e32 v2, v3, v2
	s_waitcnt lgkmcnt(0)
	s_delay_alu instid0(VALU_DEP_1)
	v_add_nc_u16 v0, v0, v2
	ds_store_b16 v10, v0 offset:8736
.LBB2_44:
	s_or_b32 exec_lo, exec_lo, s0
	s_lshl_b32 s0, s15, 9
	s_waitcnt lgkmcnt(0)
	v_mov_b32_e32 v0, s0
	s_barrier
	buffer_gl0_inv
	s_and_saveexec_b32 s1, s2
	s_cbranch_execnz .LBB2_47
; %bb.45:
	s_or_b32 exec_lo, exec_lo, s1
	s_and_saveexec_b32 s0, vcc_lo
	s_cbranch_execnz .LBB2_48
.LBB2_46:
	s_nop 0
	s_sendmsg sendmsg(MSG_DEALLOC_VGPRS)
	s_endpgm
.LBB2_47:
	ds_load_u16 v4, v10 offset:8224
	v_or_b32_e32 v2, s0, v1
	s_or_b32 s2, s0, 0x100
	s_delay_alu instid0(SALU_CYCLE_1) | instskip(NEXT) | instid1(VALU_DEP_1)
	v_dual_mov_b32 v3, 0 :: v_dual_mov_b32 v0, s2
	v_lshlrev_b64 v[2:3], 1, v[2:3]
	s_delay_alu instid0(VALU_DEP_1) | instskip(NEXT) | instid1(VALU_DEP_1)
	v_add_co_u32 v2, s0, s18, v2
	v_add_co_ci_u32_e64 v3, s0, s19, v3, s0
	s_waitcnt lgkmcnt(0)
	global_store_b16 v[2:3], v4, off
	s_or_b32 exec_lo, exec_lo, s1
	s_and_saveexec_b32 s0, vcc_lo
	s_cbranch_execz .LBB2_46
.LBB2_48:
	ds_load_u16 v2, v10 offset:8736
	v_dual_mov_b32 v1, 0 :: v_dual_add_nc_u32 v0, v0, v1
	s_delay_alu instid0(VALU_DEP_1) | instskip(NEXT) | instid1(VALU_DEP_1)
	v_lshlrev_b64 v[0:1], 1, v[0:1]
	v_add_co_u32 v0, vcc_lo, s18, v0
	s_delay_alu instid0(VALU_DEP_2)
	v_add_co_ci_u32_e32 v1, vcc_lo, s19, v1, vcc_lo
	s_waitcnt lgkmcnt(0)
	global_store_b16 v[0:1], v2, off
	s_nop 0
	s_sendmsg sendmsg(MSG_DEALLOC_VGPRS)
	s_endpgm
	.section	.rodata,"a",@progbits
	.p2align	6, 0x0
	.amdhsa_kernel _Z16histogram_kernelILj256ELj3ELj512ELN6hipcub23BlockHistogramAlgorithmE1EtEvPT3_S3_
		.amdhsa_group_segment_fixed_size 9248
		.amdhsa_private_segment_fixed_size 0
		.amdhsa_kernarg_size 272
		.amdhsa_user_sgpr_count 15
		.amdhsa_user_sgpr_dispatch_ptr 0
		.amdhsa_user_sgpr_queue_ptr 0
		.amdhsa_user_sgpr_kernarg_segment_ptr 1
		.amdhsa_user_sgpr_dispatch_id 0
		.amdhsa_user_sgpr_private_segment_size 0
		.amdhsa_wavefront_size32 1
		.amdhsa_uses_dynamic_stack 0
		.amdhsa_enable_private_segment 0
		.amdhsa_system_sgpr_workgroup_id_x 1
		.amdhsa_system_sgpr_workgroup_id_y 0
		.amdhsa_system_sgpr_workgroup_id_z 0
		.amdhsa_system_sgpr_workgroup_info 0
		.amdhsa_system_vgpr_workitem_id 2
		.amdhsa_next_free_vgpr 33
		.amdhsa_next_free_sgpr 20
		.amdhsa_reserve_vcc 1
		.amdhsa_float_round_mode_32 0
		.amdhsa_float_round_mode_16_64 0
		.amdhsa_float_denorm_mode_32 3
		.amdhsa_float_denorm_mode_16_64 3
		.amdhsa_dx10_clamp 1
		.amdhsa_ieee_mode 1
		.amdhsa_fp16_overflow 0
		.amdhsa_workgroup_processor_mode 1
		.amdhsa_memory_ordered 1
		.amdhsa_forward_progress 0
		.amdhsa_shared_vgpr_count 0
		.amdhsa_exception_fp_ieee_invalid_op 0
		.amdhsa_exception_fp_denorm_src 0
		.amdhsa_exception_fp_ieee_div_zero 0
		.amdhsa_exception_fp_ieee_overflow 0
		.amdhsa_exception_fp_ieee_underflow 0
		.amdhsa_exception_fp_ieee_inexact 0
		.amdhsa_exception_int_div_zero 0
	.end_amdhsa_kernel
	.section	.text._Z16histogram_kernelILj256ELj3ELj512ELN6hipcub23BlockHistogramAlgorithmE1EtEvPT3_S3_,"axG",@progbits,_Z16histogram_kernelILj256ELj3ELj512ELN6hipcub23BlockHistogramAlgorithmE1EtEvPT3_S3_,comdat
.Lfunc_end2:
	.size	_Z16histogram_kernelILj256ELj3ELj512ELN6hipcub23BlockHistogramAlgorithmE1EtEvPT3_S3_, .Lfunc_end2-_Z16histogram_kernelILj256ELj3ELj512ELN6hipcub23BlockHistogramAlgorithmE1EtEvPT3_S3_
                                        ; -- End function
	.section	.AMDGPU.csdata,"",@progbits
; Kernel info:
; codeLenInByte = 4936
; NumSgprs: 22
; NumVgprs: 33
; ScratchSize: 0
; MemoryBound: 0
; FloatMode: 240
; IeeeMode: 1
; LDSByteSize: 9248 bytes/workgroup (compile time only)
; SGPRBlocks: 2
; VGPRBlocks: 4
; NumSGPRsForWavesPerEU: 22
; NumVGPRsForWavesPerEU: 33
; Occupancy: 16
; WaveLimiterHint : 0
; COMPUTE_PGM_RSRC2:SCRATCH_EN: 0
; COMPUTE_PGM_RSRC2:USER_SGPR: 15
; COMPUTE_PGM_RSRC2:TRAP_HANDLER: 0
; COMPUTE_PGM_RSRC2:TGID_X_EN: 1
; COMPUTE_PGM_RSRC2:TGID_Y_EN: 0
; COMPUTE_PGM_RSRC2:TGID_Z_EN: 0
; COMPUTE_PGM_RSRC2:TIDIG_COMP_CNT: 2
	.section	.text._Z16histogram_kernelILj32ELj2ELj64ELN6hipcub23BlockHistogramAlgorithmE1EtEvPT3_S3_,"axG",@progbits,_Z16histogram_kernelILj32ELj2ELj64ELN6hipcub23BlockHistogramAlgorithmE1EtEvPT3_S3_,comdat
	.protected	_Z16histogram_kernelILj32ELj2ELj64ELN6hipcub23BlockHistogramAlgorithmE1EtEvPT3_S3_ ; -- Begin function _Z16histogram_kernelILj32ELj2ELj64ELN6hipcub23BlockHistogramAlgorithmE1EtEvPT3_S3_
	.globl	_Z16histogram_kernelILj32ELj2ELj64ELN6hipcub23BlockHistogramAlgorithmE1EtEvPT3_S3_
	.p2align	8
	.type	_Z16histogram_kernelILj32ELj2ELj64ELN6hipcub23BlockHistogramAlgorithmE1EtEvPT3_S3_,@function
_Z16histogram_kernelILj32ELj2ELj64ELN6hipcub23BlockHistogramAlgorithmE1EtEvPT3_S3_: ; @_Z16histogram_kernelILj32ELj2ELj64ELN6hipcub23BlockHistogramAlgorithmE1EtEvPT3_S3_
; %bb.0:
	v_and_b32_e32 v1, 0x3ff, v0
	s_load_b128 s[16:19], s[0:1], 0x0
	s_lshl_b32 s11, s15, 6
	s_delay_alu instid0(VALU_DEP_1) | instskip(SKIP_1) | instid1(VALU_DEP_2)
	v_dual_mov_b32 v3, 0 :: v_dual_lshlrev_b32 v10, 1, v1
	v_cmp_gt_u32_e64 s2, 64, v1
	v_or_b32_e32 v2, s11, v10
	s_delay_alu instid0(VALU_DEP_1) | instskip(SKIP_1) | instid1(VALU_DEP_1)
	v_lshlrev_b64 v[4:5], 1, v[2:3]
	s_waitcnt lgkmcnt(0)
	v_add_co_u32 v4, vcc_lo, s16, v4
	s_delay_alu instid0(VALU_DEP_2)
	v_add_co_ci_u32_e32 v5, vcc_lo, s17, v5, vcc_lo
	global_load_b32 v2, v[4:5], off
	s_and_saveexec_b32 s3, s2
	s_cbranch_execz .LBB3_2
; %bb.1:
	ds_store_b16 v10, v3 offset:1040
.LBB3_2:
	s_or_b32 exec_lo, exec_lo, s3
	v_cmp_gt_u32_e32 vcc_lo, 32, v1
	s_and_saveexec_b32 s3, vcc_lo
	s_cbranch_execz .LBB3_4
; %bb.3:
	v_mov_b32_e32 v3, 0
	ds_store_b16 v10, v3 offset:1104
.LBB3_4:
	s_or_b32 exec_lo, exec_lo, s3
	v_mbcnt_lo_u32_b32 v14, -1, 0
	s_waitcnt vmcnt(0)
	v_and_b32_e32 v4, 0xffff, v2
	v_lshrrev_b32_e32 v2, 16, v2
	s_waitcnt vmcnt(0) lgkmcnt(0)
	s_waitcnt_vscnt null, 0x0
	; wave barrier
	s_waitcnt lgkmcnt(0)
	buffer_gl0_inv
	v_lshlrev_b32_e32 v3, 1, v14
	v_and_b32_e32 v7, 1, v14
	s_waitcnt vmcnt(0) lgkmcnt(0)
	s_waitcnt_vscnt null, 0x0
	; wave barrier
	buffer_gl0_inv
	v_and_b32_e32 v3, 60, v3
	v_cmp_eq_u32_e64 s3, 0, v7
	ds_bpermute_b32 v5, v3, v4
	ds_bpermute_b32 v6, v3, v2
	ds_bpermute_b32 v4, v3, v4 offset:64
	ds_bpermute_b32 v2, v3, v2 offset:64
	s_waitcnt lgkmcnt(2)
	v_bfi_b32 v3, 0xffff, v6, v5
	s_delay_alu instid0(VALU_DEP_1) | instskip(SKIP_1) | instid1(VALU_DEP_1)
	v_cndmask_b32_e64 v5, v3, v5, s3
	s_waitcnt lgkmcnt(1)
	v_perm_b32 v4, v4, v5, 0x5040100
	s_delay_alu instid0(VALU_DEP_1) | instskip(SKIP_1) | instid1(VALU_DEP_1)
	v_cndmask_b32_e64 v3, v3, v4, s3
	s_waitcnt lgkmcnt(0)
	v_perm_b32 v2, v2, v3, 0x5040100
	s_delay_alu instid0(VALU_DEP_1) | instskip(SKIP_3) | instid1(VALU_DEP_3)
	v_cndmask_b32_e64 v13, v2, v4, s3
	s_load_b32 s3, s[0:1], 0x1c
	v_bfe_u32 v2, v0, 10, 10
	v_bfe_u32 v0, v0, 20, 10
	v_and_b32_e32 v3, 1, v13
	v_lshlrev_b32_e32 v4, 30, v13
	v_lshlrev_b32_e32 v5, 29, v13
	;; [unrolled: 1-line block ×4, first 2 shown]
	v_add_co_u32 v3, s0, v3, -1
	s_delay_alu instid0(VALU_DEP_1)
	v_cndmask_b32_e64 v7, 0, 1, s0
	v_not_b32_e32 v12, v4
	v_cmp_gt_i32_e64 s1, 0, v4
	v_not_b32_e32 v4, v5
	v_lshlrev_b32_e32 v9, 26, v13
	v_cmp_ne_u32_e64 s0, 0, v7
	v_ashrrev_i32_e32 v12, 31, v12
	v_lshlrev_b32_e32 v11, 25, v13
	v_ashrrev_i32_e32 v4, 31, v4
	v_lshlrev_b32_e32 v7, 24, v13
	v_xor_b32_e32 v3, s0, v3
	v_cmp_gt_i32_e64 s0, 0, v5
	v_not_b32_e32 v5, v6
	v_xor_b32_e32 v12, s1, v12
	v_cmp_gt_i32_e64 s1, 0, v6
	v_and_b32_e32 v3, exec_lo, v3
	v_not_b32_e32 v6, v8
	v_ashrrev_i32_e32 v5, 31, v5
	v_xor_b32_e32 v4, s0, v4
	v_cmp_gt_i32_e64 s0, 0, v8
	v_and_b32_e32 v3, v3, v12
	v_not_b32_e32 v8, v9
	v_ashrrev_i32_e32 v6, 31, v6
	v_xor_b32_e32 v5, s1, v5
	v_cmp_gt_i32_e64 s1, 0, v9
	v_and_b32_e32 v3, v3, v4
	;; [unrolled: 5-line block ×4, first 2 shown]
	v_ashrrev_i32_e32 v5, 31, v5
	v_xor_b32_e32 v4, s0, v4
	s_waitcnt lgkmcnt(0)
	s_lshr_b32 s4, s3, 16
	s_and_b32 s0, s3, 0xffff
	v_and_b32_e32 v3, v3, v8
	v_mad_u32_u24 v0, v0, s4, v2
	v_xor_b32_e32 v2, s1, v5
	s_delay_alu instid0(VALU_DEP_3) | instskip(NEXT) | instid1(VALU_DEP_2)
	v_and_b32_e32 v5, v3, v4
	v_mad_u64_u32 v[3:4], null, v0, s0, v[1:2]
	v_mov_b32_e32 v4, 0
	s_delay_alu instid0(VALU_DEP_3)
	v_and_b32_e32 v2, v5, v2
	v_lshlrev_b32_e32 v0, 5, v1
	ds_store_2addr_b32 v0, v4, v4 offset0:1 offset1:2
	ds_store_2addr_b32 v0, v4, v4 offset0:3 offset1:4
	;; [unrolled: 1-line block ×4, first 2 shown]
	v_mbcnt_lo_u32_b32 v16, v2, 0
	v_lshrrev_b32_e32 v11, 5, v3
	v_and_b32_e32 v3, 0xff, v13
	v_cmp_ne_u32_e64 s1, 0, v2
	s_waitcnt lgkmcnt(0)
	v_cmp_eq_u32_e64 s0, 0, v16
	; wave barrier
	buffer_gl0_inv
	v_add_lshl_u32 v17, v11, v3, 2
	; wave barrier
	s_and_b32 s1, s1, s0
	s_delay_alu instid0(SALU_CYCLE_1)
	s_and_saveexec_b32 s0, s1
	s_cbranch_execz .LBB3_6
; %bb.5:
	v_bcnt_u32_b32 v2, v2, 0
	ds_store_b32 v17, v2 offset:4
.LBB3_6:
	s_or_b32 exec_lo, exec_lo, s0
	v_bfe_u32 v2, v13, 16, 1
	v_lshrrev_b32_e32 v18, 16, v13
	; wave barrier
	v_or_b32_e32 v12, 4, v0
	s_delay_alu instid0(VALU_DEP_3) | instskip(NEXT) | instid1(VALU_DEP_1)
	v_add_co_u32 v2, s0, v2, -1
	v_cndmask_b32_e64 v3, 0, 1, s0
	s_delay_alu instid0(VALU_DEP_4)
	v_lshlrev_b32_e32 v4, 30, v18
	v_lshlrev_b32_e32 v5, 29, v18
	;; [unrolled: 1-line block ×4, first 2 shown]
	v_cmp_ne_u32_e64 s0, 0, v3
	v_not_b32_e32 v3, v4
	v_cmp_gt_i32_e64 s1, 0, v4
	v_not_b32_e32 v4, v5
	v_lshlrev_b32_e32 v8, 26, v18
	v_xor_b32_e32 v2, s0, v2
	v_ashrrev_i32_e32 v3, 31, v3
	v_cmp_gt_i32_e64 s0, 0, v5
	v_not_b32_e32 v5, v6
	v_ashrrev_i32_e32 v4, 31, v4
	v_and_b32_e32 v2, exec_lo, v2
	v_xor_b32_e32 v3, s1, v3
	v_cmp_gt_i32_e64 s1, 0, v6
	v_not_b32_e32 v6, v7
	v_ashrrev_i32_e32 v5, 31, v5
	v_xor_b32_e32 v4, s0, v4
	v_and_b32_e32 v2, v2, v3
	v_lshlrev_b32_e32 v3, 25, v18
	v_cmp_gt_i32_e64 s0, 0, v7
	v_ashrrev_i32_e32 v6, 31, v6
	v_xor_b32_e32 v5, s1, v5
	v_and_b32_e32 v2, v2, v4
	v_not_b32_e32 v7, v8
	v_lshlrev_b32_e32 v4, 24, v18
	v_not_b32_e32 v9, v3
	v_xor_b32_e32 v6, s0, v6
	v_and_b32_e32 v2, v2, v5
	v_cmp_gt_i32_e64 s0, 0, v8
	v_ashrrev_i32_e32 v5, 31, v7
	v_cmp_gt_i32_e64 s1, 0, v3
	v_ashrrev_i32_e32 v3, 31, v9
	v_and_b32_e32 v2, v2, v6
	v_not_b32_e32 v6, v4
	v_xor_b32_e32 v5, s0, v5
	v_bfe_u32 v7, v13, 16, 8
	v_xor_b32_e32 v3, s1, v3
	v_cmp_gt_i32_e64 s0, 0, v4
	v_ashrrev_i32_e32 v4, 31, v6
	v_and_b32_e32 v2, v2, v5
	v_add_lshl_u32 v19, v11, v7, 2
	s_delay_alu instid0(VALU_DEP_3) | instskip(NEXT) | instid1(VALU_DEP_3)
	v_xor_b32_e32 v4, s0, v4
	v_and_b32_e32 v2, v2, v3
	ds_load_b32 v20, v19 offset:4
	; wave barrier
	v_and_b32_e32 v2, v2, v4
	s_delay_alu instid0(VALU_DEP_1) | instskip(SKIP_1) | instid1(VALU_DEP_2)
	v_mbcnt_lo_u32_b32 v21, v2, 0
	v_cmp_ne_u32_e64 s1, 0, v2
	v_cmp_eq_u32_e64 s0, 0, v21
	s_delay_alu instid0(VALU_DEP_1) | instskip(NEXT) | instid1(SALU_CYCLE_1)
	s_and_b32 s1, s1, s0
	s_and_saveexec_b32 s0, s1
	s_cbranch_execz .LBB3_8
; %bb.7:
	s_waitcnt lgkmcnt(0)
	v_bcnt_u32_b32 v2, v2, v20
	ds_store_b32 v19, v2 offset:4
.LBB3_8:
	s_or_b32 exec_lo, exec_lo, s0
	; wave barrier
	s_waitcnt vmcnt(0) lgkmcnt(0)
	s_waitcnt_vscnt null, 0x0
	; wave barrier
	s_waitcnt lgkmcnt(0)
	buffer_gl0_inv
	ds_load_2addr_b32 v[8:9], v0 offset0:1 offset1:2
	ds_load_2addr_b32 v[6:7], v12 offset0:2 offset1:3
	ds_load_2addr_b32 v[4:5], v12 offset0:4 offset1:5
	ds_load_2addr_b32 v[2:3], v12 offset0:6 offset1:7
	v_and_b32_e32 v23, 16, v14
	v_cmp_eq_u32_e64 s6, 31, v1
	s_delay_alu instid0(VALU_DEP_2) | instskip(SKIP_3) | instid1(VALU_DEP_1)
	v_cmp_eq_u32_e64 s7, 0, v23
	s_waitcnt lgkmcnt(3)
	v_add_nc_u32_e32 v15, v9, v8
	s_waitcnt lgkmcnt(2)
	v_add3_u32 v15, v15, v6, v7
	s_waitcnt lgkmcnt(1)
	s_delay_alu instid0(VALU_DEP_1) | instskip(SKIP_1) | instid1(VALU_DEP_1)
	v_add3_u32 v15, v15, v4, v5
	s_waitcnt lgkmcnt(0)
	v_add3_u32 v3, v15, v2, v3
	v_and_b32_e32 v15, 15, v14
	s_delay_alu instid0(VALU_DEP_2) | instskip(NEXT) | instid1(VALU_DEP_2)
	v_mov_b32_dpp v22, v3 row_shr:1 row_mask:0xf bank_mask:0xf
	v_cmp_eq_u32_e64 s1, 0, v15
	v_cmp_lt_u32_e64 s3, 1, v15
	v_cmp_lt_u32_e64 s4, 3, v15
	;; [unrolled: 1-line block ×3, first 2 shown]
	s_delay_alu instid0(VALU_DEP_4) | instskip(NEXT) | instid1(VALU_DEP_1)
	v_cndmask_b32_e64 v22, v22, 0, s1
	v_add_nc_u32_e32 v3, v22, v3
	s_delay_alu instid0(VALU_DEP_1) | instskip(NEXT) | instid1(VALU_DEP_1)
	v_mov_b32_dpp v22, v3 row_shr:2 row_mask:0xf bank_mask:0xf
	v_cndmask_b32_e64 v22, 0, v22, s3
	s_delay_alu instid0(VALU_DEP_1) | instskip(NEXT) | instid1(VALU_DEP_1)
	v_add_nc_u32_e32 v3, v3, v22
	v_mov_b32_dpp v22, v3 row_shr:4 row_mask:0xf bank_mask:0xf
	s_delay_alu instid0(VALU_DEP_1) | instskip(NEXT) | instid1(VALU_DEP_1)
	v_cndmask_b32_e64 v22, 0, v22, s4
	v_add_nc_u32_e32 v3, v3, v22
	s_delay_alu instid0(VALU_DEP_1) | instskip(NEXT) | instid1(VALU_DEP_1)
	v_mov_b32_dpp v22, v3 row_shr:8 row_mask:0xf bank_mask:0xf
	v_cndmask_b32_e64 v15, 0, v22, s5
	v_bfe_i32 v22, v14, 4, 1
	s_delay_alu instid0(VALU_DEP_2) | instskip(SKIP_4) | instid1(VALU_DEP_2)
	v_add_nc_u32_e32 v15, v3, v15
	ds_swizzle_b32 v3, v15 offset:swizzle(BROADCAST,32,15)
	s_waitcnt lgkmcnt(0)
	v_and_b32_e32 v22, v22, v3
	v_and_or_b32 v3, 0x7c0, v10, v14
	v_add_nc_u32_e32 v22, v15, v22
	s_and_saveexec_b32 s0, s6
	s_cbranch_execz .LBB3_10
; %bb.9:
	v_mov_b32_e32 v15, 0
	ds_store_b32 v15, v22
.LBB3_10:
	s_or_b32 exec_lo, exec_lo, s0
	v_add_nc_u32_e32 v15, -1, v14
	v_cmp_eq_u32_e64 s8, 0, v14
	s_waitcnt vmcnt(0) lgkmcnt(0)
	s_waitcnt_vscnt null, 0x0
	; wave barrier
	s_waitcnt lgkmcnt(0)
	buffer_gl0_inv
	v_lshlrev_b32_e32 v3, 1, v3
	v_cmp_gt_i32_e64 s0, 0, v15
	s_delay_alu instid0(VALU_DEP_1) | instskip(SKIP_1) | instid1(VALU_DEP_2)
	v_cndmask_b32_e64 v15, v15, v14, s0
	v_cmp_eq_u32_e64 s0, 0, v1
	v_lshlrev_b32_e32 v15, 2, v15
	s_delay_alu instid0(VALU_DEP_2) | instskip(SKIP_3) | instid1(VALU_DEP_1)
	s_or_b32 s12, s0, s8
	ds_bpermute_b32 v22, v15, v22
	s_waitcnt lgkmcnt(0)
	v_cndmask_b32_e64 v14, v22, 0, s12
	v_add_nc_u32_e32 v8, v14, v8
	s_delay_alu instid0(VALU_DEP_1) | instskip(NEXT) | instid1(VALU_DEP_1)
	v_add_nc_u32_e32 v9, v8, v9
	v_add_nc_u32_e32 v6, v9, v6
	s_delay_alu instid0(VALU_DEP_1) | instskip(NEXT) | instid1(VALU_DEP_1)
	v_add_nc_u32_e32 v7, v6, v7
	;; [unrolled: 3-line block ×3, first 2 shown]
	v_add_nc_u32_e32 v2, v5, v2
	ds_store_2addr_b32 v0, v14, v8 offset0:1 offset1:2
	ds_store_2addr_b32 v12, v9, v6 offset0:2 offset1:3
	;; [unrolled: 1-line block ×4, first 2 shown]
	s_waitcnt vmcnt(0) lgkmcnt(0)
	s_waitcnt_vscnt null, 0x0
	; wave barrier
	s_waitcnt lgkmcnt(0)
	buffer_gl0_inv
	ds_load_b32 v2, v17 offset:4
	ds_load_b32 v4, v19 offset:4
	v_add_nc_u32_e32 v5, v21, v20
	s_waitcnt vmcnt(0) lgkmcnt(0)
	s_waitcnt_vscnt null, 0x0
	; wave barrier
	s_waitcnt lgkmcnt(0)
	buffer_gl0_inv
	v_add_lshl_u32 v2, v2, v16, 1
	v_add_lshl_u32 v4, v5, v4, 1
	ds_store_b16 v2, v13
	ds_store_b16 v4, v18
	s_waitcnt vmcnt(0) lgkmcnt(0)
	s_waitcnt_vscnt null, 0x0
	; wave barrier
	s_waitcnt lgkmcnt(0)
	buffer_gl0_inv
	ds_load_u16 v13, v3
	ds_load_u16 v14, v3 offset:64
	s_waitcnt vmcnt(0) lgkmcnt(0)
	s_waitcnt_vscnt null, 0x0
	; wave barrier
	s_waitcnt lgkmcnt(0)
	buffer_gl0_inv
	v_lshrrev_b16 v2, 8, v13
	s_delay_alu instid0(VALU_DEP_1) | instskip(NEXT) | instid1(VALU_DEP_1)
	v_and_b32_e32 v3, 0xffff, v2
	v_and_b32_e32 v2, 1, v3
	v_lshlrev_b32_e32 v4, 30, v3
	v_lshlrev_b32_e32 v5, 29, v3
	;; [unrolled: 1-line block ×4, first 2 shown]
	v_add_co_u32 v2, s8, v2, -1
	s_delay_alu instid0(VALU_DEP_1)
	v_cndmask_b32_e64 v7, 0, 1, s8
	v_not_b32_e32 v17, v4
	v_cmp_gt_i32_e64 s9, 0, v4
	v_not_b32_e32 v4, v5
	v_lshlrev_b32_e32 v9, 26, v3
	v_cmp_ne_u32_e64 s8, 0, v7
	v_ashrrev_i32_e32 v17, 31, v17
	v_lshlrev_b32_e32 v16, 25, v3
	v_ashrrev_i32_e32 v4, 31, v4
	v_lshlrev_b32_e32 v7, 24, v3
	v_xor_b32_e32 v2, s8, v2
	v_cmp_gt_i32_e64 s8, 0, v5
	v_not_b32_e32 v5, v6
	v_xor_b32_e32 v17, s9, v17
	v_cmp_gt_i32_e64 s9, 0, v6
	v_and_b32_e32 v2, exec_lo, v2
	v_not_b32_e32 v6, v8
	v_ashrrev_i32_e32 v5, 31, v5
	v_xor_b32_e32 v4, s8, v4
	v_cmp_gt_i32_e64 s8, 0, v8
	v_and_b32_e32 v2, v2, v17
	v_not_b32_e32 v8, v9
	v_ashrrev_i32_e32 v6, 31, v6
	v_xor_b32_e32 v5, s9, v5
	v_cmp_gt_i32_e64 s9, 0, v9
	v_and_b32_e32 v2, v2, v4
	;; [unrolled: 5-line block ×4, first 2 shown]
	v_ashrrev_i32_e32 v5, 31, v5
	v_xor_b32_e32 v4, s8, v4
	v_cmp_ne_u32_e64 s8, 0, v1
	v_add_lshl_u32 v17, v11, v3, 2
	v_and_b32_e32 v2, v2, v8
	v_xor_b32_e32 v5, s9, v5
	s_delay_alu instid0(VALU_DEP_2)
	v_and_b32_e32 v2, v2, v4
	v_mov_b32_e32 v4, 0
	ds_store_2addr_b32 v0, v4, v4 offset0:1 offset1:2
	ds_store_2addr_b32 v12, v4, v4 offset0:2 offset1:3
	;; [unrolled: 1-line block ×4, first 2 shown]
	v_and_b32_e32 v2, v2, v5
	s_waitcnt vmcnt(0) lgkmcnt(0)
	s_waitcnt_vscnt null, 0x0
	; wave barrier
	s_waitcnt lgkmcnt(0)
	buffer_gl0_inv
	; wave barrier
	v_mbcnt_lo_u32_b32 v16, v2, 0
	v_cmp_ne_u32_e64 s10, 0, v2
	s_delay_alu instid0(VALU_DEP_2) | instskip(NEXT) | instid1(VALU_DEP_1)
	v_cmp_eq_u32_e64 s9, 0, v16
	s_and_b32 s10, s10, s9
	s_delay_alu instid0(SALU_CYCLE_1)
	s_and_saveexec_b32 s9, s10
	s_cbranch_execz .LBB3_12
; %bb.11:
	v_bcnt_u32_b32 v2, v2, 0
	ds_store_b32 v17, v2 offset:4
.LBB3_12:
	s_or_b32 exec_lo, exec_lo, s9
	v_lshrrev_b16 v2, 8, v14
	; wave barrier
	s_delay_alu instid0(VALU_DEP_1) | instskip(NEXT) | instid1(VALU_DEP_1)
	v_and_b32_e32 v2, 0xffff, v2
	v_and_b32_e32 v3, 1, v2
	v_lshlrev_b32_e32 v4, 30, v2
	v_lshlrev_b32_e32 v5, 29, v2
	;; [unrolled: 1-line block ×4, first 2 shown]
	v_add_co_u32 v3, s9, v3, -1
	s_delay_alu instid0(VALU_DEP_1)
	v_cndmask_b32_e64 v7, 0, 1, s9
	v_not_b32_e32 v19, v4
	v_cmp_gt_i32_e64 s10, 0, v4
	v_not_b32_e32 v4, v5
	v_lshlrev_b32_e32 v9, 26, v2
	v_cmp_ne_u32_e64 s9, 0, v7
	v_ashrrev_i32_e32 v19, 31, v19
	v_lshlrev_b32_e32 v18, 25, v2
	v_ashrrev_i32_e32 v4, 31, v4
	v_lshlrev_b32_e32 v7, 24, v2
	v_xor_b32_e32 v3, s9, v3
	v_cmp_gt_i32_e64 s9, 0, v5
	v_not_b32_e32 v5, v6
	v_xor_b32_e32 v19, s10, v19
	v_cmp_gt_i32_e64 s10, 0, v6
	v_and_b32_e32 v3, exec_lo, v3
	v_not_b32_e32 v6, v8
	v_ashrrev_i32_e32 v5, 31, v5
	v_xor_b32_e32 v4, s9, v4
	v_cmp_gt_i32_e64 s9, 0, v8
	v_and_b32_e32 v3, v3, v19
	v_not_b32_e32 v8, v9
	v_ashrrev_i32_e32 v6, 31, v6
	v_xor_b32_e32 v5, s10, v5
	v_cmp_gt_i32_e64 s10, 0, v9
	v_and_b32_e32 v3, v3, v4
	;; [unrolled: 5-line block ×4, first 2 shown]
	v_ashrrev_i32_e32 v5, 31, v5
	v_xor_b32_e32 v4, s9, v4
	v_add_lshl_u32 v11, v11, v2, 2
	s_delay_alu instid0(VALU_DEP_4) | instskip(NEXT) | instid1(VALU_DEP_4)
	v_and_b32_e32 v3, v3, v8
	v_xor_b32_e32 v2, s10, v5
	ds_load_b32 v18, v11 offset:4
	v_and_b32_e32 v3, v3, v4
	; wave barrier
	s_delay_alu instid0(VALU_DEP_1) | instskip(NEXT) | instid1(VALU_DEP_1)
	v_and_b32_e32 v2, v3, v2
	v_mbcnt_lo_u32_b32 v19, v2, 0
	v_cmp_ne_u32_e64 s10, 0, v2
	s_delay_alu instid0(VALU_DEP_2) | instskip(NEXT) | instid1(VALU_DEP_1)
	v_cmp_eq_u32_e64 s9, 0, v19
	s_and_b32 s10, s10, s9
	s_delay_alu instid0(SALU_CYCLE_1)
	s_and_saveexec_b32 s9, s10
	s_cbranch_execz .LBB3_14
; %bb.13:
	s_waitcnt lgkmcnt(0)
	v_bcnt_u32_b32 v2, v2, v18
	ds_store_b32 v11, v2 offset:4
.LBB3_14:
	s_or_b32 exec_lo, exec_lo, s9
	; wave barrier
	s_waitcnt vmcnt(0) lgkmcnt(0)
	s_waitcnt_vscnt null, 0x0
	; wave barrier
	s_waitcnt lgkmcnt(0)
	buffer_gl0_inv
	ds_load_2addr_b32 v[8:9], v0 offset0:1 offset1:2
	ds_load_2addr_b32 v[6:7], v12 offset0:2 offset1:3
	;; [unrolled: 1-line block ×4, first 2 shown]
	s_waitcnt lgkmcnt(3)
	v_add_nc_u32_e32 v20, v9, v8
	s_waitcnt lgkmcnt(2)
	s_delay_alu instid0(VALU_DEP_1) | instskip(SKIP_1) | instid1(VALU_DEP_1)
	v_add3_u32 v20, v20, v6, v7
	s_waitcnt lgkmcnt(1)
	v_add3_u32 v20, v20, v4, v5
	s_waitcnt lgkmcnt(0)
	s_delay_alu instid0(VALU_DEP_1) | instskip(NEXT) | instid1(VALU_DEP_1)
	v_add3_u32 v3, v20, v2, v3
	v_mov_b32_dpp v20, v3 row_shr:1 row_mask:0xf bank_mask:0xf
	s_delay_alu instid0(VALU_DEP_1) | instskip(NEXT) | instid1(VALU_DEP_1)
	v_cndmask_b32_e64 v20, v20, 0, s1
	v_add_nc_u32_e32 v3, v20, v3
	s_delay_alu instid0(VALU_DEP_1) | instskip(NEXT) | instid1(VALU_DEP_1)
	v_mov_b32_dpp v20, v3 row_shr:2 row_mask:0xf bank_mask:0xf
	v_cndmask_b32_e64 v20, 0, v20, s3
	s_delay_alu instid0(VALU_DEP_1) | instskip(NEXT) | instid1(VALU_DEP_1)
	v_add_nc_u32_e32 v3, v3, v20
	v_mov_b32_dpp v20, v3 row_shr:4 row_mask:0xf bank_mask:0xf
	s_delay_alu instid0(VALU_DEP_1) | instskip(NEXT) | instid1(VALU_DEP_1)
	v_cndmask_b32_e64 v20, 0, v20, s4
	v_add_nc_u32_e32 v3, v3, v20
	s_delay_alu instid0(VALU_DEP_1) | instskip(NEXT) | instid1(VALU_DEP_1)
	v_mov_b32_dpp v20, v3 row_shr:8 row_mask:0xf bank_mask:0xf
	v_cndmask_b32_e64 v20, 0, v20, s5
	s_delay_alu instid0(VALU_DEP_1) | instskip(SKIP_3) | instid1(VALU_DEP_1)
	v_add_nc_u32_e32 v3, v3, v20
	ds_swizzle_b32 v20, v3 offset:swizzle(BROADCAST,32,15)
	s_waitcnt lgkmcnt(0)
	v_cndmask_b32_e64 v20, v20, 0, s7
	v_add_nc_u32_e32 v3, v3, v20
	s_and_saveexec_b32 s1, s6
	s_cbranch_execz .LBB3_16
; %bb.15:
	v_mov_b32_e32 v20, 0
	ds_store_b32 v20, v3
.LBB3_16:
	s_or_b32 exec_lo, exec_lo, s1
	ds_bpermute_b32 v3, v15, v3
	s_waitcnt vmcnt(0) lgkmcnt(0)
	s_waitcnt_vscnt null, 0x0
	; wave barrier
	s_waitcnt lgkmcnt(0)
	buffer_gl0_inv
	s_mov_b32 s3, 0
	v_cndmask_b32_e64 v3, v3, 0, s12
	s_delay_alu instid0(VALU_DEP_1) | instskip(NEXT) | instid1(VALU_DEP_1)
	v_add_nc_u32_e32 v8, v3, v8
	v_add_nc_u32_e32 v9, v8, v9
	s_delay_alu instid0(VALU_DEP_1) | instskip(NEXT) | instid1(VALU_DEP_1)
	v_add_nc_u32_e32 v6, v9, v6
	v_add_nc_u32_e32 v7, v6, v7
	;; [unrolled: 3-line block ×3, first 2 shown]
	s_delay_alu instid0(VALU_DEP_1)
	v_add_nc_u32_e32 v2, v5, v2
	ds_store_2addr_b32 v0, v3, v8 offset0:1 offset1:2
	ds_store_2addr_b32 v12, v9, v6 offset0:2 offset1:3
	;; [unrolled: 1-line block ×4, first 2 shown]
	s_waitcnt vmcnt(0) lgkmcnt(0)
	s_waitcnt_vscnt null, 0x0
	; wave barrier
	s_waitcnt lgkmcnt(0)
	buffer_gl0_inv
	ds_load_b32 v0, v17 offset:4
	ds_load_b32 v2, v11 offset:4
	v_add_nc_u32_e32 v3, v19, v18
	s_waitcnt vmcnt(0) lgkmcnt(0)
	s_waitcnt_vscnt null, 0x0
	; wave barrier
	s_waitcnt lgkmcnt(0)
	buffer_gl0_inv
	v_add_lshl_u32 v0, v0, v16, 1
	v_add_lshl_u32 v2, v3, v2, 1
	v_lshlrev_b32_e32 v3, 1, v10
	ds_store_b16 v0, v13
	ds_store_b16 v2, v14
	s_waitcnt vmcnt(0) lgkmcnt(0)
	s_waitcnt_vscnt null, 0x0
	; wave barrier
	s_waitcnt lgkmcnt(0)
	buffer_gl0_inv
	ds_load_u16 v0, v3
	ds_load_u16 v2, v3 offset:2
	s_waitcnt vmcnt(0) lgkmcnt(0)
	s_waitcnt_vscnt null, 0x0
	; wave barrier
	s_waitcnt lgkmcnt(0)
	buffer_gl0_inv
	s_and_saveexec_b32 s4, s2
	s_cbranch_execz .LBB3_19
; %bb.17:
	v_lshl_add_u32 v3, v1, 2, 0x80
	v_dual_mov_b32 v4, 64 :: v_dual_mov_b32 v5, v1
.LBB3_18:                               ; =>This Inner Loop Header: Depth=1
	s_delay_alu instid0(VALU_DEP_1) | instskip(SKIP_3) | instid1(VALU_DEP_1)
	v_add_nc_u32_e32 v5, 32, v5
	ds_store_2addr_stride64_b32 v3, v4, v4 offset1:1
	v_add_nc_u32_e32 v3, 0x80, v3
	v_cmp_lt_u32_e64 s1, 63, v5
	s_or_b32 s3, s1, s3
	s_delay_alu instid0(SALU_CYCLE_1)
	s_and_not1_b32 exec_lo, exec_lo, s3
	s_cbranch_execnz .LBB3_18
.LBB3_19:
	s_or_b32 exec_lo, exec_lo, s4
	v_and_b32_e32 v3, 0xffff, v0
	s_mov_b32 s3, exec_lo
	s_waitcnt vmcnt(0) lgkmcnt(0)
	s_waitcnt_vscnt null, 0x0
	; wave barrier
	s_waitcnt lgkmcnt(0)
	buffer_gl0_inv
	ds_store_b16 v10, v2
	v_cmpx_ne_u16_e64 v0, v2
	s_cbranch_execz .LBB3_21
; %bb.20:
	v_and_b32_e32 v2, 0xffff, v2
	v_or_b32_e32 v4, 1, v10
	v_lshlrev_b32_e32 v5, 2, v3
	s_delay_alu instid0(VALU_DEP_3)
	v_lshlrev_b32_e32 v2, 2, v2
	ds_store_b32 v2, v4 offset:128
	ds_store_b32 v5, v4 offset:384
.LBB3_21:
	s_or_b32 exec_lo, exec_lo, s3
	s_waitcnt vmcnt(0) lgkmcnt(0)
	s_waitcnt_vscnt null, 0x0
	; wave barrier
	s_waitcnt lgkmcnt(0)
	buffer_gl0_inv
	s_and_saveexec_b32 s3, s8
	s_cbranch_execz .LBB3_24
; %bb.22:
	v_add_nc_u32_e32 v2, -2, v10
	ds_load_u16 v4, v2
	s_waitcnt lgkmcnt(0)
	v_cmp_ne_u16_e64 s1, v4, v0
	s_delay_alu instid0(VALU_DEP_1)
	s_and_b32 exec_lo, exec_lo, s1
	s_cbranch_execz .LBB3_24
; %bb.23:
	v_lshlrev_b32_e32 v0, 2, v3
	ds_store_b32 v0, v10 offset:128
	ds_load_u16 v0, v2
	s_waitcnt lgkmcnt(0)
	v_lshlrev_b32_e32 v0, 2, v0
	ds_store_b32 v0, v10 offset:384
.LBB3_24:
	s_or_b32 exec_lo, exec_lo, s3
	s_waitcnt vmcnt(0) lgkmcnt(0)
	s_waitcnt_vscnt null, 0x0
	; wave barrier
	s_waitcnt lgkmcnt(0)
	buffer_gl0_inv
	s_and_saveexec_b32 s1, s0
	s_cbranch_execz .LBB3_26
; %bb.25:
	v_lshlrev_b32_e32 v0, 2, v3
	v_mov_b32_e32 v2, 0
	ds_store_b32 v0, v2 offset:128
.LBB3_26:
	s_or_b32 exec_lo, exec_lo, s1
	v_lshlrev_b32_e32 v0, 2, v1
	s_waitcnt vmcnt(0) lgkmcnt(0)
	s_waitcnt_vscnt null, 0x0
	; wave barrier
	s_waitcnt lgkmcnt(0)
	buffer_gl0_inv
	s_and_saveexec_b32 s0, s2
	s_cbranch_execz .LBB3_28
; %bb.27:
	ds_load_2addr_b32 v[2:3], v0 offset0:32 offset1:96
	ds_load_u16 v4, v10 offset:1040
	s_waitcnt lgkmcnt(1)
	v_sub_nc_u32_e32 v2, v3, v2
	s_waitcnt lgkmcnt(0)
	s_delay_alu instid0(VALU_DEP_1)
	v_add_nc_u16 v2, v4, v2
	ds_store_b16 v10, v2 offset:1040
.LBB3_28:
	s_or_b32 exec_lo, exec_lo, s0
	s_and_saveexec_b32 s0, vcc_lo
	s_cbranch_execz .LBB3_30
; %bb.29:
	ds_load_2addr_stride64_b32 v[2:3], v0 offset0:1 offset1:2
	ds_load_u16 v0, v10 offset:1104
	s_waitcnt lgkmcnt(1)
	v_sub_nc_u32_e32 v2, v3, v2
	s_waitcnt lgkmcnt(0)
	s_delay_alu instid0(VALU_DEP_1)
	v_add_nc_u16 v0, v0, v2
	ds_store_b16 v10, v0 offset:1104
.LBB3_30:
	s_or_b32 exec_lo, exec_lo, s0
	v_mov_b32_e32 v0, s11
	s_waitcnt vmcnt(0) lgkmcnt(0)
	s_waitcnt_vscnt null, 0x0
	; wave barrier
	s_waitcnt lgkmcnt(0)
	buffer_gl0_inv
	s_and_saveexec_b32 s1, s2
	s_cbranch_execnz .LBB3_33
; %bb.31:
	s_or_b32 exec_lo, exec_lo, s1
	s_and_saveexec_b32 s0, vcc_lo
	s_cbranch_execnz .LBB3_34
.LBB3_32:
	s_nop 0
	s_sendmsg sendmsg(MSG_DEALLOC_VGPRS)
	s_endpgm
.LBB3_33:
	ds_load_u16 v4, v10 offset:1040
	v_or_b32_e32 v2, s11, v1
	s_or_b32 s2, s11, 32
	s_delay_alu instid0(SALU_CYCLE_1) | instskip(NEXT) | instid1(VALU_DEP_1)
	v_dual_mov_b32 v3, 0 :: v_dual_mov_b32 v0, s2
	v_lshlrev_b64 v[2:3], 1, v[2:3]
	s_delay_alu instid0(VALU_DEP_1) | instskip(NEXT) | instid1(VALU_DEP_1)
	v_add_co_u32 v2, s0, s18, v2
	v_add_co_ci_u32_e64 v3, s0, s19, v3, s0
	s_waitcnt lgkmcnt(0)
	global_store_b16 v[2:3], v4, off
	s_or_b32 exec_lo, exec_lo, s1
	s_and_saveexec_b32 s0, vcc_lo
	s_cbranch_execz .LBB3_32
.LBB3_34:
	ds_load_u16 v2, v10 offset:1104
	v_dual_mov_b32 v1, 0 :: v_dual_add_nc_u32 v0, v0, v1
	s_delay_alu instid0(VALU_DEP_1) | instskip(NEXT) | instid1(VALU_DEP_1)
	v_lshlrev_b64 v[0:1], 1, v[0:1]
	v_add_co_u32 v0, vcc_lo, s18, v0
	s_delay_alu instid0(VALU_DEP_2)
	v_add_co_ci_u32_e32 v1, vcc_lo, s19, v1, vcc_lo
	s_waitcnt lgkmcnt(0)
	global_store_b16 v[0:1], v2, off
	s_nop 0
	s_sendmsg sendmsg(MSG_DEALLOC_VGPRS)
	s_endpgm
	.section	.rodata,"a",@progbits
	.p2align	6, 0x0
	.amdhsa_kernel _Z16histogram_kernelILj32ELj2ELj64ELN6hipcub23BlockHistogramAlgorithmE1EtEvPT3_S3_
		.amdhsa_group_segment_fixed_size 1168
		.amdhsa_private_segment_fixed_size 0
		.amdhsa_kernarg_size 272
		.amdhsa_user_sgpr_count 15
		.amdhsa_user_sgpr_dispatch_ptr 0
		.amdhsa_user_sgpr_queue_ptr 0
		.amdhsa_user_sgpr_kernarg_segment_ptr 1
		.amdhsa_user_sgpr_dispatch_id 0
		.amdhsa_user_sgpr_private_segment_size 0
		.amdhsa_wavefront_size32 1
		.amdhsa_uses_dynamic_stack 0
		.amdhsa_enable_private_segment 0
		.amdhsa_system_sgpr_workgroup_id_x 1
		.amdhsa_system_sgpr_workgroup_id_y 0
		.amdhsa_system_sgpr_workgroup_id_z 0
		.amdhsa_system_sgpr_workgroup_info 0
		.amdhsa_system_vgpr_workitem_id 2
		.amdhsa_next_free_vgpr 24
		.amdhsa_next_free_sgpr 20
		.amdhsa_reserve_vcc 1
		.amdhsa_float_round_mode_32 0
		.amdhsa_float_round_mode_16_64 0
		.amdhsa_float_denorm_mode_32 3
		.amdhsa_float_denorm_mode_16_64 3
		.amdhsa_dx10_clamp 1
		.amdhsa_ieee_mode 1
		.amdhsa_fp16_overflow 0
		.amdhsa_workgroup_processor_mode 1
		.amdhsa_memory_ordered 1
		.amdhsa_forward_progress 0
		.amdhsa_shared_vgpr_count 0
		.amdhsa_exception_fp_ieee_invalid_op 0
		.amdhsa_exception_fp_denorm_src 0
		.amdhsa_exception_fp_ieee_div_zero 0
		.amdhsa_exception_fp_ieee_overflow 0
		.amdhsa_exception_fp_ieee_underflow 0
		.amdhsa_exception_fp_ieee_inexact 0
		.amdhsa_exception_int_div_zero 0
	.end_amdhsa_kernel
	.section	.text._Z16histogram_kernelILj32ELj2ELj64ELN6hipcub23BlockHistogramAlgorithmE1EtEvPT3_S3_,"axG",@progbits,_Z16histogram_kernelILj32ELj2ELj64ELN6hipcub23BlockHistogramAlgorithmE1EtEvPT3_S3_,comdat
.Lfunc_end3:
	.size	_Z16histogram_kernelILj32ELj2ELj64ELN6hipcub23BlockHistogramAlgorithmE1EtEvPT3_S3_, .Lfunc_end3-_Z16histogram_kernelILj32ELj2ELj64ELN6hipcub23BlockHistogramAlgorithmE1EtEvPT3_S3_
                                        ; -- End function
	.section	.AMDGPU.csdata,"",@progbits
; Kernel info:
; codeLenInByte = 3700
; NumSgprs: 22
; NumVgprs: 24
; ScratchSize: 0
; MemoryBound: 0
; FloatMode: 240
; IeeeMode: 1
; LDSByteSize: 1168 bytes/workgroup (compile time only)
; SGPRBlocks: 2
; VGPRBlocks: 2
; NumSGPRsForWavesPerEU: 22
; NumVGPRsForWavesPerEU: 24
; Occupancy: 16
; WaveLimiterHint : 0
; COMPUTE_PGM_RSRC2:SCRATCH_EN: 0
; COMPUTE_PGM_RSRC2:USER_SGPR: 15
; COMPUTE_PGM_RSRC2:TRAP_HANDLER: 0
; COMPUTE_PGM_RSRC2:TGID_X_EN: 1
; COMPUTE_PGM_RSRC2:TGID_Y_EN: 0
; COMPUTE_PGM_RSRC2:TGID_Z_EN: 0
; COMPUTE_PGM_RSRC2:TIDIG_COMP_CNT: 2
	.section	.text._Z16histogram_kernelILj6ELj32ELj18ELN6hipcub23BlockHistogramAlgorithmE1EtEvPT3_S3_,"axG",@progbits,_Z16histogram_kernelILj6ELj32ELj18ELN6hipcub23BlockHistogramAlgorithmE1EtEvPT3_S3_,comdat
	.protected	_Z16histogram_kernelILj6ELj32ELj18ELN6hipcub23BlockHistogramAlgorithmE1EtEvPT3_S3_ ; -- Begin function _Z16histogram_kernelILj6ELj32ELj18ELN6hipcub23BlockHistogramAlgorithmE1EtEvPT3_S3_
	.globl	_Z16histogram_kernelILj6ELj32ELj18ELN6hipcub23BlockHistogramAlgorithmE1EtEvPT3_S3_
	.p2align	8
	.type	_Z16histogram_kernelILj6ELj32ELj18ELN6hipcub23BlockHistogramAlgorithmE1EtEvPT3_S3_,@function
_Z16histogram_kernelILj6ELj32ELj18ELN6hipcub23BlockHistogramAlgorithmE1EtEvPT3_S3_: ; @_Z16histogram_kernelILj6ELj32ELj18ELN6hipcub23BlockHistogramAlgorithmE1EtEvPT3_S3_
; %bb.0:
	s_load_b128 s[8:11], s[0:1], 0x0
	s_mul_i32 s0, s15, 6
	v_mov_b32_e32 v17, 0
	v_add_lshl_u32 v16, s0, v0, 5
	v_cmp_gt_u32_e64 s2, 18, v0
	v_lshlrev_b32_e32 v25, 1, v0
	s_delay_alu instid0(VALU_DEP_3) | instskip(SKIP_1) | instid1(VALU_DEP_1)
	v_lshlrev_b64 v[1:2], 1, v[16:17]
	s_waitcnt lgkmcnt(0)
	v_add_co_u32 v1, vcc_lo, s8, v1
	s_delay_alu instid0(VALU_DEP_2)
	v_add_co_ci_u32_e32 v2, vcc_lo, s9, v2, vcc_lo
	s_clause 0x3
	global_load_b128 v[13:16], v[1:2], off
	global_load_b128 v[9:12], v[1:2], off offset:16
	global_load_b128 v[5:8], v[1:2], off offset:32
	;; [unrolled: 1-line block ×3, first 2 shown]
	s_and_saveexec_b32 s0, s2
	s_cbranch_execnz .LBB4_91
; %bb.1:
	s_or_b32 exec_lo, exec_lo, s0
	v_cmp_gt_u32_e64 s1, 12, v0
	s_delay_alu instid0(VALU_DEP_1)
	s_and_saveexec_b32 s0, s1
	s_cbranch_execnz .LBB4_92
.LBB4_2:
	s_or_b32 exec_lo, exec_lo, s0
	v_cmp_gt_u32_e64 s0, 6, v0
	s_delay_alu instid0(VALU_DEP_1)
	s_and_saveexec_b32 s3, s0
	s_cbranch_execz .LBB4_4
.LBB4_3:
	v_mov_b32_e32 v17, 0
	ds_store_b16 v25, v17 offset:408
.LBB4_4:
	s_or_b32 exec_lo, exec_lo, s3
	v_mbcnt_lo_u32_b32 v17, -1, 0
	v_cmp_gt_u32_e64 s3, 48, v0
	v_dual_mov_b32 v31, 0 :: v_dual_lshlrev_b32 v26, 5, v0
	v_cmp_eq_u32_e64 s4, 5, v0
	s_delay_alu instid0(VALU_DEP_4)
	v_add_nc_u32_e32 v18, -1, v17
	v_and_b32_e32 v19, 24, v17
	v_and_b32_e32 v20, 7, v17
	v_lshlrev_b32_e32 v28, 6, v0
	v_cmp_eq_u32_e64 s5, 0, v17
	v_add_nc_u32_e32 v30, -6, v0
	v_cmp_lt_i32_e32 vcc_lo, v18, v19
	v_lshlrev_b32_e32 v27, 2, v0
	v_cmp_eq_u32_e64 s6, 0, v20
	v_cmp_lt_u32_e64 s7, 1, v20
	v_cmp_lt_u32_e64 s8, 3, v20
	v_cndmask_b32_e32 v18, v18, v17, vcc_lo
	s_mov_b32 s9, 0
	s_waitcnt vmcnt(0) lgkmcnt(0)
	s_waitcnt_vscnt null, 0x0
	; wave barrier
	s_waitcnt vmcnt(0) lgkmcnt(0)
	buffer_gl0_inv
	v_lshlrev_b32_e32 v29, 2, v18
	s_branch .LBB4_6
.LBB4_5:                                ;   in Loop: Header=BB4_6 Depth=1
	v_lshlrev_b32_e32 v74, 1, v62
	v_lshlrev_b32_e32 v75, 1, v61
	s_waitcnt vmcnt(0) lgkmcnt(0)
	s_waitcnt_vscnt null, 0x0
	; wave barrier
	buffer_gl0_inv
	v_lshlrev_b32_e32 v76, 1, v47
	ds_store_b16 v74, v13
	ds_store_b16 v75, v32
	v_lshlrev_b32_e32 v13, 1, v53
	v_lshlrev_b32_e32 v74, 1, v52
	v_lshlrev_b32_e32 v75, 1, v50
	v_lshlrev_b32_e32 v77, 1, v45
	ds_store_b16 v13, v14
	ds_store_b16 v74, v33
	ds_store_b16 v75, v15
	ds_store_b16 v76, v34
	ds_store_b16 v77, v16
	v_lshlrev_b32_e32 v13, 1, v17
	v_lshlrev_b32_e32 v14, 1, v51
	v_lshlrev_b32_e32 v15, 1, v48
	v_lshlrev_b32_e32 v16, 1, v46
	v_lshlrev_b32_e32 v74, 1, v24
	ds_store_b16 v13, v35
	ds_store_b16 v14, v9
	ds_store_b16 v15, v36
	ds_store_b16 v16, v10
	ds_store_b16 v74, v37
	v_lshlrev_b32_e32 v9, 1, v73
	;; [unrolled: 10-line block ×5, first 2 shown]
	v_lshlrev_b32_e32 v2, 1, v22
	v_lshlrev_b32_e32 v5, 1, v21
	;; [unrolled: 1-line block ×4, first 2 shown]
	ds_store_b16 v1, v54
	ds_store_b16 v2, v3
	;; [unrolled: 1-line block ×5, first 2 shown]
	s_waitcnt vmcnt(0) lgkmcnt(0)
	s_waitcnt_vscnt null, 0x0
	; wave barrier
	s_waitcnt lgkmcnt(0)
	buffer_gl0_inv
	ds_load_b128 v[13:16], v28
	ds_load_b128 v[9:12], v28 offset:16
	ds_load_b128 v[5:8], v28 offset:32
	;; [unrolled: 1-line block ×3, first 2 shown]
	s_add_i32 s9, s9, 4
	s_waitcnt vmcnt(0) lgkmcnt(0)
	s_waitcnt_vscnt null, 0x0
	; wave barrier
	s_waitcnt lgkmcnt(0)
	buffer_gl0_inv
	s_cbranch_execz .LBB4_13
.LBB4_6:                                ; =>This Loop Header: Depth=1
                                        ;     Child Loop BB4_8 Depth 2
	s_and_saveexec_b32 s12, s3
	s_cbranch_execz .LBB4_9
; %bb.7:                                ;   in Loop: Header=BB4_6 Depth=1
	v_dual_mov_b32 v17, v30 :: v_dual_mov_b32 v18, v27
	s_mov_b32 s13, 0
.LBB4_8:                                ;   Parent Loop BB4_6 Depth=1
                                        ; =>  This Inner Loop Header: Depth=2
	s_delay_alu instid0(VALU_DEP_1) | instskip(SKIP_4) | instid1(SALU_CYCLE_1)
	v_add_nc_u32_e32 v17, 6, v17
	ds_store_b32 v18, v31
	v_add_nc_u32_e32 v18, 24, v18
	v_cmp_lt_u32_e32 vcc_lo, 41, v17
	s_or_b32 s13, vcc_lo, s13
	s_and_not1_b32 exec_lo, exec_lo, s13
	s_cbranch_execnz .LBB4_8
.LBB4_9:                                ;   in Loop: Header=BB4_6 Depth=1
	s_or_b32 exec_lo, exec_lo, s12
	v_and_b32_e32 v17, 0xffff, v13
	v_lshrrev_b32_e32 v32, 16, v13
	v_lshrrev_b32_e32 v33, 16, v14
	;; [unrolled: 1-line block ×5, first 2 shown]
	v_bfe_u32 v17, v17, s9, 3
	v_lshrrev_b32_e32 v36, 16, v9
	v_lshrrev_b32_e32 v37, 16, v10
	;; [unrolled: 1-line block ×4, first 2 shown]
	v_mad_u32_u24 v17, v17, 6, v0
	v_lshrrev_b32_e32 v39, 16, v12
	v_lshrrev_b32_e32 v40, 16, v5
	;; [unrolled: 1-line block ×3, first 2 shown]
	v_and_b32_e32 v18, 2, v18
	v_lshrrev_b32_e32 v42, 16, v7
	v_lshrrev_b32_e32 v43, 16, v8
	;; [unrolled: 1-line block ×4, first 2 shown]
	v_lshl_or_b32 v44, v17, 2, v18
	v_lshrrev_b32_e32 v17, s9, v32
	v_bfe_u32 v18, v32, s9, 3
	v_lshrrev_b32_e32 v58, 16, v3
	v_lshrrev_b32_e32 v63, 16, v4
	ds_load_u16 v48, v44
	v_lshrrev_b32_e32 v17, 2, v17
	v_mad_u32_u24 v18, v18, 6, v0
	s_delay_alu instid0(VALU_DEP_2) | instskip(NEXT) | instid1(VALU_DEP_1)
	v_and_b32_e32 v17, 2, v17
	v_lshl_or_b32 v45, v18, 2, v17
	v_and_b32_e32 v17, 0xffff, v14
	s_delay_alu instid0(VALU_DEP_1) | instskip(SKIP_3) | instid1(VALU_DEP_3)
	v_lshrrev_b32_e32 v18, s9, v17
	v_bfe_u32 v17, v17, s9, 3
	s_waitcnt lgkmcnt(0)
	v_add_nc_u16 v19, v48, 1
	v_lshrrev_b32_e32 v18, 2, v18
	s_delay_alu instid0(VALU_DEP_3) | instskip(SKIP_3) | instid1(VALU_DEP_1)
	v_mad_u32_u24 v17, v17, 6, v0
	ds_store_b16 v44, v19
	ds_load_u16 v51, v45
	v_and_b32_e32 v18, 2, v18
	v_lshl_or_b32 v46, v17, 2, v18
	v_lshrrev_b32_e32 v17, s9, v33
	v_bfe_u32 v18, v33, s9, 3
	s_delay_alu instid0(VALU_DEP_2) | instskip(NEXT) | instid1(VALU_DEP_2)
	v_lshrrev_b32_e32 v17, 2, v17
	v_mad_u32_u24 v18, v18, 6, v0
	s_delay_alu instid0(VALU_DEP_2) | instskip(SKIP_2) | instid1(VALU_DEP_2)
	v_and_b32_e32 v17, 2, v17
	s_waitcnt lgkmcnt(0)
	v_add_nc_u16 v19, v51, 1
	v_lshl_or_b32 v47, v18, 2, v17
	v_and_b32_e32 v17, 0xffff, v15
	ds_store_b16 v45, v19
	ds_load_u16 v53, v46
	v_lshrrev_b32_e32 v18, s9, v17
	v_bfe_u32 v17, v17, s9, 3
	s_delay_alu instid0(VALU_DEP_2) | instskip(NEXT) | instid1(VALU_DEP_2)
	v_lshrrev_b32_e32 v18, 2, v18
	v_mad_u32_u24 v17, v17, 6, v0
	s_delay_alu instid0(VALU_DEP_2) | instskip(NEXT) | instid1(VALU_DEP_1)
	v_and_b32_e32 v18, 2, v18
	v_lshl_or_b32 v50, v17, 2, v18
	v_lshrrev_b32_e32 v17, s9, v34
	v_bfe_u32 v18, v34, s9, 3
	s_waitcnt lgkmcnt(0)
	v_add_nc_u16 v19, v53, 1
	s_delay_alu instid0(VALU_DEP_3) | instskip(NEXT) | instid1(VALU_DEP_3)
	v_lshrrev_b32_e32 v17, 2, v17
	v_mad_u32_u24 v18, v18, 6, v0
	ds_store_b16 v46, v19
	ds_load_u16 v56, v47
	v_and_b32_e32 v17, 2, v17
	s_delay_alu instid0(VALU_DEP_1) | instskip(SKIP_1) | instid1(VALU_DEP_1)
	v_lshl_or_b32 v52, v18, 2, v17
	v_and_b32_e32 v17, 0xffff, v16
	v_lshrrev_b32_e32 v18, s9, v17
	v_bfe_u32 v17, v17, s9, 3
	s_delay_alu instid0(VALU_DEP_2) | instskip(NEXT) | instid1(VALU_DEP_2)
	v_lshrrev_b32_e32 v18, 2, v18
	v_mad_u32_u24 v17, v17, 6, v0
	s_waitcnt lgkmcnt(0)
	v_add_nc_u16 v19, v56, 1
	s_delay_alu instid0(VALU_DEP_3)
	v_and_b32_e32 v18, 2, v18
	ds_store_b16 v47, v19
	ds_load_u16 v60, v50
	v_lshl_or_b32 v55, v17, 2, v18
	v_lshrrev_b32_e32 v17, s9, v35
	v_bfe_u32 v18, v35, s9, 3
	s_delay_alu instid0(VALU_DEP_2) | instskip(NEXT) | instid1(VALU_DEP_2)
	v_lshrrev_b32_e32 v17, 2, v17
	v_mad_u32_u24 v18, v18, 6, v0
	s_delay_alu instid0(VALU_DEP_2) | instskip(NEXT) | instid1(VALU_DEP_1)
	v_and_b32_e32 v17, 2, v17
	v_lshl_or_b32 v57, v18, 2, v17
	v_and_b32_e32 v17, 0xffff, v9
	s_waitcnt lgkmcnt(0)
	v_add_nc_u16 v19, v60, 1
	s_delay_alu instid0(VALU_DEP_2) | instskip(SKIP_4) | instid1(VALU_DEP_2)
	v_lshrrev_b32_e32 v18, s9, v17
	ds_store_b16 v50, v19
	ds_load_u16 v62, v52
	v_bfe_u32 v17, v17, s9, 3
	v_lshrrev_b32_e32 v18, 2, v18
	v_mad_u32_u24 v17, v17, 6, v0
	s_delay_alu instid0(VALU_DEP_2) | instskip(NEXT) | instid1(VALU_DEP_1)
	v_and_b32_e32 v18, 2, v18
	v_lshl_or_b32 v59, v17, 2, v18
	v_lshrrev_b32_e32 v17, s9, v36
	v_bfe_u32 v18, v36, s9, 3
	s_delay_alu instid0(VALU_DEP_2) | instskip(SKIP_2) | instid1(VALU_DEP_3)
	v_lshrrev_b32_e32 v17, 2, v17
	s_waitcnt lgkmcnt(0)
	v_add_nc_u16 v19, v62, 1
	v_mad_u32_u24 v18, v18, 6, v0
	s_delay_alu instid0(VALU_DEP_3) | instskip(SKIP_4) | instid1(VALU_DEP_1)
	v_and_b32_e32 v17, 2, v17
	ds_store_b16 v52, v19
	ds_load_u16 v65, v55
	v_lshl_or_b32 v61, v18, 2, v17
	v_and_b32_e32 v17, 0xffff, v10
	v_lshrrev_b32_e32 v18, s9, v17
	v_bfe_u32 v17, v17, s9, 3
	s_delay_alu instid0(VALU_DEP_2) | instskip(NEXT) | instid1(VALU_DEP_2)
	v_lshrrev_b32_e32 v18, 2, v18
	v_mad_u32_u24 v17, v17, 6, v0
	s_delay_alu instid0(VALU_DEP_2) | instskip(SKIP_2) | instid1(VALU_DEP_2)
	v_and_b32_e32 v18, 2, v18
	s_waitcnt lgkmcnt(0)
	v_add_nc_u16 v19, v65, 1
	v_lshl_or_b32 v64, v17, 2, v18
	ds_store_b16 v55, v19
	ds_load_u16 v68, v57
	v_lshrrev_b32_e32 v17, s9, v37
	v_bfe_u32 v18, v37, s9, 3
	s_delay_alu instid0(VALU_DEP_2) | instskip(NEXT) | instid1(VALU_DEP_2)
	v_lshrrev_b32_e32 v17, 2, v17
	v_mad_u32_u24 v18, v18, 6, v0
	s_delay_alu instid0(VALU_DEP_2) | instskip(NEXT) | instid1(VALU_DEP_1)
	v_and_b32_e32 v17, 2, v17
	v_lshl_or_b32 v67, v18, 2, v17
	v_and_b32_e32 v17, 0xffff, v11
	s_waitcnt lgkmcnt(0)
	v_add_nc_u16 v19, v68, 1
	s_delay_alu instid0(VALU_DEP_2)
	v_lshrrev_b32_e32 v18, s9, v17
	v_bfe_u32 v17, v17, s9, 3
	ds_store_b16 v57, v19
	ds_load_u16 v70, v59
	v_lshrrev_b32_e32 v18, 2, v18
	v_mad_u32_u24 v17, v17, 6, v0
	s_delay_alu instid0(VALU_DEP_2) | instskip(NEXT) | instid1(VALU_DEP_1)
	v_and_b32_e32 v18, 2, v18
	v_lshl_or_b32 v66, v17, 2, v18
	v_lshrrev_b32_e32 v17, s9, v38
	v_bfe_u32 v18, v38, s9, 3
	s_delay_alu instid0(VALU_DEP_2) | instskip(NEXT) | instid1(VALU_DEP_2)
	v_lshrrev_b32_e32 v17, 2, v17
	v_mad_u32_u24 v18, v18, 6, v0
	s_waitcnt lgkmcnt(0)
	v_add_nc_u16 v19, v70, 1
	s_delay_alu instid0(VALU_DEP_3) | instskip(SKIP_4) | instid1(VALU_DEP_1)
	v_and_b32_e32 v17, 2, v17
	ds_store_b16 v59, v19
	ds_load_u16 v72, v61
	v_lshl_or_b32 v69, v18, 2, v17
	v_and_b32_e32 v17, 0xffff, v12
	v_lshrrev_b32_e32 v18, s9, v17
	v_bfe_u32 v17, v17, s9, 3
	s_delay_alu instid0(VALU_DEP_2) | instskip(NEXT) | instid1(VALU_DEP_2)
	v_lshrrev_b32_e32 v18, 2, v18
	v_mad_u32_u24 v17, v17, 6, v0
	s_delay_alu instid0(VALU_DEP_2) | instskip(SKIP_2) | instid1(VALU_DEP_2)
	v_and_b32_e32 v18, 2, v18
	s_waitcnt lgkmcnt(0)
	v_add_nc_u16 v19, v72, 1
	v_lshl_or_b32 v71, v17, 2, v18
	v_lshrrev_b32_e32 v17, s9, v39
	v_bfe_u32 v18, v39, s9, 3
	ds_store_b16 v61, v19
	ds_load_u16 v75, v64
	v_lshrrev_b32_e32 v17, 2, v17
	v_mad_u32_u24 v18, v18, 6, v0
	s_delay_alu instid0(VALU_DEP_2) | instskip(NEXT) | instid1(VALU_DEP_1)
	v_and_b32_e32 v17, 2, v17
	v_lshl_or_b32 v73, v18, 2, v17
	v_and_b32_e32 v17, 0xffff, v5
	s_delay_alu instid0(VALU_DEP_1) | instskip(SKIP_3) | instid1(VALU_DEP_3)
	v_lshrrev_b32_e32 v18, s9, v17
	v_bfe_u32 v17, v17, s9, 3
	s_waitcnt lgkmcnt(0)
	v_add_nc_u16 v19, v75, 1
	v_lshrrev_b32_e32 v18, 2, v18
	s_delay_alu instid0(VALU_DEP_3) | instskip(SKIP_3) | instid1(VALU_DEP_1)
	v_mad_u32_u24 v17, v17, 6, v0
	ds_store_b16 v64, v19
	ds_load_u16 v77, v67
	v_and_b32_e32 v18, 2, v18
	v_lshl_or_b32 v74, v17, 2, v18
	v_lshrrev_b32_e32 v17, s9, v40
	v_bfe_u32 v18, v40, s9, 3
	s_delay_alu instid0(VALU_DEP_2) | instskip(NEXT) | instid1(VALU_DEP_2)
	v_lshrrev_b32_e32 v17, 2, v17
	v_mad_u32_u24 v18, v18, 6, v0
	s_delay_alu instid0(VALU_DEP_2) | instskip(SKIP_2) | instid1(VALU_DEP_2)
	v_and_b32_e32 v17, 2, v17
	s_waitcnt lgkmcnt(0)
	v_add_nc_u16 v19, v77, 1
	v_lshl_or_b32 v76, v18, 2, v17
	v_and_b32_e32 v17, 0xffff, v6
	ds_store_b16 v67, v19
	ds_load_u16 v79, v66
	v_lshrrev_b32_e32 v18, s9, v17
	v_bfe_u32 v17, v17, s9, 3
	s_delay_alu instid0(VALU_DEP_2) | instskip(NEXT) | instid1(VALU_DEP_2)
	v_lshrrev_b32_e32 v18, 2, v18
	v_mad_u32_u24 v17, v17, 6, v0
	s_delay_alu instid0(VALU_DEP_2) | instskip(NEXT) | instid1(VALU_DEP_1)
	v_and_b32_e32 v18, 2, v18
	v_lshl_or_b32 v78, v17, 2, v18
	v_lshrrev_b32_e32 v17, s9, v41
	s_waitcnt lgkmcnt(0)
	v_add_nc_u16 v19, v79, 1
	v_bfe_u32 v18, v41, s9, 3
	s_delay_alu instid0(VALU_DEP_3) | instskip(SKIP_4) | instid1(VALU_DEP_1)
	v_lshrrev_b32_e32 v17, 2, v17
	ds_store_b16 v66, v19
	ds_load_u16 v81, v69
	v_mad_u32_u24 v18, v18, 6, v0
	v_and_b32_e32 v17, 2, v17
	v_lshl_or_b32 v80, v18, 2, v17
	v_and_b32_e32 v17, 0xffff, v7
	s_delay_alu instid0(VALU_DEP_1) | instskip(SKIP_1) | instid1(VALU_DEP_2)
	v_lshrrev_b32_e32 v18, s9, v17
	v_bfe_u32 v17, v17, s9, 3
	v_lshrrev_b32_e32 v18, 2, v18
	s_waitcnt lgkmcnt(0)
	v_add_nc_u16 v19, v81, 1
	s_delay_alu instid0(VALU_DEP_3) | instskip(NEXT) | instid1(VALU_DEP_3)
	v_mad_u32_u24 v17, v17, 6, v0
	v_and_b32_e32 v18, 2, v18
	ds_store_b16 v69, v19
	ds_load_u16 v83, v71
	v_lshl_or_b32 v82, v17, 2, v18
	v_lshrrev_b32_e32 v17, s9, v42
	v_bfe_u32 v18, v42, s9, 3
	s_delay_alu instid0(VALU_DEP_2) | instskip(NEXT) | instid1(VALU_DEP_2)
	v_lshrrev_b32_e32 v17, 2, v17
	v_mad_u32_u24 v18, v18, 6, v0
	s_delay_alu instid0(VALU_DEP_2) | instskip(NEXT) | instid1(VALU_DEP_1)
	v_and_b32_e32 v17, 2, v17
	v_lshl_or_b32 v84, v18, 2, v17
	s_waitcnt lgkmcnt(0)
	v_add_nc_u16 v19, v83, 1
	v_and_b32_e32 v17, 0xffff, v8
	ds_store_b16 v71, v19
	ds_load_u16 v85, v73
	v_lshrrev_b32_e32 v18, s9, v17
	v_bfe_u32 v17, v17, s9, 3
	s_delay_alu instid0(VALU_DEP_2) | instskip(NEXT) | instid1(VALU_DEP_2)
	v_lshrrev_b32_e32 v18, 2, v18
	v_mad_u32_u24 v17, v17, 6, v0
	s_delay_alu instid0(VALU_DEP_2) | instskip(NEXT) | instid1(VALU_DEP_1)
	v_and_b32_e32 v18, 2, v18
	v_lshl_or_b32 v97, v17, 2, v18
	v_lshrrev_b32_e32 v17, s9, v43
	v_bfe_u32 v18, v43, s9, 3
	s_waitcnt lgkmcnt(0)
	v_add_nc_u16 v19, v85, 1
	s_delay_alu instid0(VALU_DEP_3) | instskip(NEXT) | instid1(VALU_DEP_3)
	v_lshrrev_b32_e32 v17, 2, v17
	v_mad_u32_u24 v18, v18, 6, v0
	ds_store_b16 v73, v19
	ds_load_u16 v87, v74
	v_and_b32_e32 v17, 2, v17
	s_delay_alu instid0(VALU_DEP_1) | instskip(SKIP_1) | instid1(VALU_DEP_1)
	v_lshl_or_b32 v107, v18, 2, v17
	v_and_b32_e32 v17, 0xffff, v1
	v_lshrrev_b32_e32 v18, s9, v17
	v_bfe_u32 v17, v17, s9, 3
	s_delay_alu instid0(VALU_DEP_2) | instskip(NEXT) | instid1(VALU_DEP_2)
	v_lshrrev_b32_e32 v18, 2, v18
	v_mad_u32_u24 v17, v17, 6, v0
	s_waitcnt lgkmcnt(0)
	v_add_nc_u16 v19, v87, 1
	s_delay_alu instid0(VALU_DEP_3)
	v_and_b32_e32 v18, 2, v18
	ds_store_b16 v74, v19
	ds_load_u16 v92, v76
	v_lshl_or_b32 v108, v17, 2, v18
	v_lshrrev_b32_e32 v17, s9, v49
	v_bfe_u32 v18, v49, s9, 3
	s_delay_alu instid0(VALU_DEP_2) | instskip(NEXT) | instid1(VALU_DEP_2)
	v_lshrrev_b32_e32 v17, 2, v17
	v_mad_u32_u24 v18, v18, 6, v0
	s_delay_alu instid0(VALU_DEP_2) | instskip(NEXT) | instid1(VALU_DEP_1)
	v_and_b32_e32 v17, 2, v17
	v_lshl_or_b32 v110, v18, 2, v17
	v_and_b32_e32 v17, 0xffff, v2
	s_waitcnt lgkmcnt(0)
	v_add_nc_u16 v19, v92, 1
	s_delay_alu instid0(VALU_DEP_2)
	v_lshrrev_b32_e32 v18, s9, v17
	v_bfe_u32 v17, v17, s9, 3
	ds_store_b16 v76, v19
	ds_load_u16 v96, v78
	v_lshrrev_b32_e32 v18, 2, v18
	v_mad_u32_u24 v17, v17, 6, v0
	s_delay_alu instid0(VALU_DEP_2) | instskip(NEXT) | instid1(VALU_DEP_1)
	v_and_b32_e32 v18, 2, v18
	v_lshl_or_b32 v111, v17, 2, v18
	v_lshrrev_b32_e32 v17, s9, v54
	v_bfe_u32 v18, v54, s9, 3
	s_delay_alu instid0(VALU_DEP_2) | instskip(NEXT) | instid1(VALU_DEP_2)
	v_lshrrev_b32_e32 v17, 2, v17
	v_mad_u32_u24 v18, v18, 6, v0
	s_waitcnt lgkmcnt(0)
	v_add_nc_u16 v19, v96, 1
	s_delay_alu instid0(VALU_DEP_3) | instskip(SKIP_4) | instid1(VALU_DEP_1)
	v_and_b32_e32 v17, 2, v17
	ds_store_b16 v78, v19
	ds_load_u16 v100, v80
	v_lshl_or_b32 v112, v18, 2, v17
	v_and_b32_e32 v17, 0xffff, v3
	v_lshrrev_b32_e32 v18, s9, v17
	v_bfe_u32 v17, v17, s9, 3
	s_delay_alu instid0(VALU_DEP_2) | instskip(NEXT) | instid1(VALU_DEP_2)
	v_lshrrev_b32_e32 v18, 2, v18
	v_mad_u32_u24 v17, v17, 6, v0
	s_delay_alu instid0(VALU_DEP_2) | instskip(SKIP_2) | instid1(VALU_DEP_2)
	v_and_b32_e32 v18, 2, v18
	s_waitcnt lgkmcnt(0)
	v_add_nc_u16 v19, v100, 1
	v_lshl_or_b32 v113, v17, 2, v18
	v_lshrrev_b32_e32 v17, s9, v58
	ds_store_b16 v80, v19
	ds_load_u16 v104, v82
	v_bfe_u32 v18, v58, s9, 3
	v_lshrrev_b32_e32 v17, 2, v17
	s_delay_alu instid0(VALU_DEP_2) | instskip(NEXT) | instid1(VALU_DEP_2)
	v_mad_u32_u24 v18, v18, 6, v0
	v_and_b32_e32 v17, 2, v17
	s_delay_alu instid0(VALU_DEP_1) | instskip(SKIP_1) | instid1(VALU_DEP_1)
	v_lshl_or_b32 v115, v18, 2, v17
	v_and_b32_e32 v17, 0xffff, v4
	v_lshrrev_b32_e32 v18, s9, v17
	s_waitcnt lgkmcnt(0)
	v_add_nc_u16 v19, v104, 1
	v_bfe_u32 v17, v17, s9, 3
	s_delay_alu instid0(VALU_DEP_3) | instskip(SKIP_4) | instid1(VALU_DEP_1)
	v_lshrrev_b32_e32 v18, 2, v18
	ds_store_b16 v82, v19
	ds_load_u16 v106, v84
	v_mad_u32_u24 v17, v17, 6, v0
	v_and_b32_e32 v18, 2, v18
	v_lshl_or_b32 v117, v17, 2, v18
	v_lshrrev_b32_e32 v17, s9, v63
	v_bfe_u32 v18, v63, s9, 3
	s_delay_alu instid0(VALU_DEP_2) | instskip(NEXT) | instid1(VALU_DEP_2)
	v_lshrrev_b32_e32 v17, 2, v17
	v_mad_u32_u24 v18, v18, 6, v0
	s_delay_alu instid0(VALU_DEP_2) | instskip(SKIP_2) | instid1(VALU_DEP_2)
	v_and_b32_e32 v17, 2, v17
	s_waitcnt lgkmcnt(0)
	v_add_nc_u16 v19, v106, 1
	v_lshl_or_b32 v118, v18, 2, v17
	ds_store_b16 v84, v19
	ds_load_u16 v109, v97
	s_waitcnt lgkmcnt(0)
	v_add_nc_u16 v19, v109, 1
	ds_store_b16 v97, v19
	ds_load_u16 v114, v107
	s_waitcnt lgkmcnt(0)
	v_add_nc_u16 v19, v114, 1
	ds_store_b16 v107, v19
	ds_load_u16 v116, v108
	s_waitcnt lgkmcnt(0)
	v_add_nc_u16 v19, v116, 1
	ds_store_b16 v108, v19
	ds_load_u16 v119, v110
	s_waitcnt lgkmcnt(0)
	v_add_nc_u16 v19, v119, 1
	ds_store_b16 v110, v19
	ds_load_u16 v120, v111
	s_waitcnt lgkmcnt(0)
	v_add_nc_u16 v19, v120, 1
	ds_store_b16 v111, v19
	ds_load_u16 v121, v112
	s_waitcnt lgkmcnt(0)
	v_add_nc_u16 v19, v121, 1
	ds_store_b16 v112, v19
	ds_load_u16 v122, v113
	s_waitcnt lgkmcnt(0)
	v_add_nc_u16 v19, v122, 1
	ds_store_b16 v113, v19
	ds_load_u16 v123, v115
	s_waitcnt lgkmcnt(0)
	v_add_nc_u16 v19, v123, 1
	ds_store_b16 v115, v19
	ds_load_u16 v124, v117
	s_waitcnt lgkmcnt(0)
	v_add_nc_u16 v19, v124, 1
	ds_store_b16 v117, v19
	ds_load_u16 v125, v118
	s_waitcnt lgkmcnt(0)
	v_add_nc_u16 v17, v125, 1
	ds_store_b16 v118, v17
	s_waitcnt vmcnt(0) lgkmcnt(0)
	s_waitcnt_vscnt null, 0x0
	; wave barrier
	s_waitcnt lgkmcnt(0)
	buffer_gl0_inv
	ds_load_2addr_b32 v[23:24], v26 offset1:1
	ds_load_2addr_b32 v[21:22], v26 offset0:2 offset1:3
	ds_load_2addr_b32 v[19:20], v26 offset0:4 offset1:5
	;; [unrolled: 1-line block ×3, first 2 shown]
	s_waitcnt lgkmcnt(3)
	v_add_nc_u32_e32 v86, v24, v23
	s_waitcnt lgkmcnt(2)
	s_delay_alu instid0(VALU_DEP_1) | instskip(SKIP_1) | instid1(VALU_DEP_1)
	v_add3_u32 v86, v86, v21, v22
	s_waitcnt lgkmcnt(1)
	v_add3_u32 v86, v86, v19, v20
	s_waitcnt lgkmcnt(0)
	s_delay_alu instid0(VALU_DEP_1) | instskip(NEXT) | instid1(VALU_DEP_1)
	v_add3_u32 v18, v86, v17, v18
	v_mov_b32_dpp v86, v18 row_shr:1 row_mask:0xf bank_mask:0xf
	s_delay_alu instid0(VALU_DEP_1) | instskip(NEXT) | instid1(VALU_DEP_1)
	v_cndmask_b32_e64 v86, v86, 0, s6
	v_add_nc_u32_e32 v18, v86, v18
	s_delay_alu instid0(VALU_DEP_1) | instskip(NEXT) | instid1(VALU_DEP_1)
	v_mov_b32_dpp v86, v18 row_shr:2 row_mask:0xf bank_mask:0xf
	v_cndmask_b32_e64 v86, 0, v86, s7
	s_delay_alu instid0(VALU_DEP_1) | instskip(NEXT) | instid1(VALU_DEP_1)
	v_add_nc_u32_e32 v18, v18, v86
	v_mov_b32_dpp v86, v18 row_shr:4 row_mask:0xf bank_mask:0xf
	s_delay_alu instid0(VALU_DEP_1) | instskip(NEXT) | instid1(VALU_DEP_1)
	v_cndmask_b32_e64 v86, 0, v86, s8
	v_add_nc_u32_e32 v18, v18, v86
	s_and_saveexec_b32 s12, s4
	s_cbranch_execz .LBB4_11
; %bb.10:                               ;   in Loop: Header=BB4_6 Depth=1
	ds_store_b32 v31, v18 offset:192
.LBB4_11:                               ;   in Loop: Header=BB4_6 Depth=1
	s_or_b32 exec_lo, exec_lo, s12
	ds_bpermute_b32 v18, v29, v18
	s_waitcnt vmcnt(0) lgkmcnt(0)
	s_waitcnt_vscnt null, 0x0
	; wave barrier
	s_waitcnt lgkmcnt(0)
	buffer_gl0_inv
	ds_load_b32 v86, v31 offset:192
	v_dual_mov_b32 v89, v8 :: v_dual_and_b32 v48, 0xffff, v48
	v_and_b32_e32 v51, 0xffff, v51
	v_and_b32_e32 v53, 0xffff, v53
	;; [unrolled: 1-line block ×14, first 2 shown]
	v_cndmask_b32_e64 v18, v18, 0, s5
	v_and_b32_e32 v85, 0xffff, v85
	v_and_b32_e32 v87, 0xffff, v87
	;; [unrolled: 1-line block ×4, first 2 shown]
	s_waitcnt lgkmcnt(0)
	v_lshl_add_u32 v126, v86, 16, v18
	v_and_b32_e32 v100, 0xffff, v100
	v_and_b32_e32 v104, 0xffff, v104
	;; [unrolled: 1-line block ×4, first 2 shown]
	v_add_nc_u32_e32 v127, v126, v23
	v_dual_mov_b32 v23, v4 :: v_dual_and_b32 v114, 0xffff, v114
	v_dual_mov_b32 v105, v13 :: v_dual_mov_b32 v102, v15
	s_delay_alu instid0(VALU_DEP_3) | instskip(SKIP_1) | instid1(VALU_DEP_2)
	v_dual_mov_b32 v103, v14 :: v_dual_add_nc_u32 v24, v127, v24
	v_dual_mov_b32 v94, v11 :: v_dual_mov_b32 v101, v16
	v_dual_mov_b32 v98, v10 :: v_dual_add_nc_u32 v21, v24, v21
	v_dual_mov_b32 v99, v9 :: v_dual_mov_b32 v90, v7
	v_dual_mov_b32 v95, v12 :: v_dual_mov_b32 v88, v1
	s_delay_alu instid0(VALU_DEP_3) | instskip(SKIP_2) | instid1(VALU_DEP_3)
	v_add_nc_u32_e32 v22, v21, v22
	v_dual_mov_b32 v93, v5 :: v_dual_mov_b32 v86, v2
	v_dual_mov_b32 v91, v6 :: v_dual_mov_b32 v18, v3
	v_add_nc_u32_e32 v19, v22, v19
	s_cmp_gt_u32 s9, 11
	s_delay_alu instid0(VALU_DEP_1) | instskip(NEXT) | instid1(VALU_DEP_1)
	v_add_nc_u32_e32 v20, v19, v20
	v_add_nc_u32_e32 v17, v20, v17
	ds_store_2addr_b32 v26, v126, v127 offset1:1
	ds_store_2addr_b32 v26, v24, v21 offset0:2 offset1:3
	ds_store_2addr_b32 v26, v22, v19 offset0:4 offset1:5
	;; [unrolled: 1-line block ×3, first 2 shown]
	s_waitcnt vmcnt(0) lgkmcnt(0)
	s_waitcnt_vscnt null, 0x0
	; wave barrier
	s_waitcnt lgkmcnt(0)
	buffer_gl0_inv
	ds_load_u16 v17, v44
	ds_load_u16 v19, v45
	;; [unrolled: 1-line block ×12, first 2 shown]
	v_and_b32_e32 v55, 0xffff, v116
	v_and_b32_e32 v116, 0xffff, v119
	;; [unrolled: 1-line block ×8, first 2 shown]
	s_waitcnt lgkmcnt(11)
	v_add_nc_u32_e32 v62, v17, v48
	s_waitcnt lgkmcnt(10)
	v_add_nc_u32_e32 v61, v19, v51
	;; [unrolled: 2-line block ×8, first 2 shown]
	ds_load_u16 v19, v66
	ds_load_u16 v20, v69
	;; [unrolled: 1-line block ×4, first 2 shown]
	s_waitcnt lgkmcnt(7)
	v_add_nc_u32_e32 v51, v57, v70
	s_waitcnt lgkmcnt(6)
	v_add_nc_u32_e32 v48, v59, v72
	;; [unrolled: 2-line block ×4, first 2 shown]
	ds_load_u16 v44, v74
	ds_load_u16 v56, v76
	;; [unrolled: 1-line block ×16, first 2 shown]
	s_waitcnt lgkmcnt(15)
	v_add_nc_u32_e32 v69, v44, v87
	s_waitcnt lgkmcnt(14)
	v_add_nc_u32_e32 v68, v56, v92
	;; [unrolled: 2-line block ×7, first 2 shown]
	v_add_nc_u32_e32 v73, v19, v79
	v_add_nc_u32_e32 v72, v20, v81
	;; [unrolled: 1-line block ×4, first 2 shown]
	s_waitcnt lgkmcnt(8)
	v_add_nc_u32_e32 v59, v75, v114
	s_waitcnt lgkmcnt(7)
	v_add_nc_u32_e32 v57, v76, v55
	;; [unrolled: 2-line block ×9, first 2 shown]
	s_cbranch_scc0 .LBB4_5
; %bb.12:
                                        ; implicit-def: $vgpr13
                                        ; implicit-def: $vgpr9
                                        ; implicit-def: $vgpr5
                                        ; implicit-def: $vgpr1
                                        ; implicit-def: $sgpr9
.LBB4_13:
	v_lshlrev_b32_e32 v1, 1, v62
	v_lshlrev_b32_e32 v2, 1, v61
	s_waitcnt vmcnt(0) lgkmcnt(0)
	s_waitcnt_vscnt null, 0x0
	; wave barrier
	buffer_gl0_inv
	v_lshlrev_b32_e32 v3, 1, v50
	ds_store_b16 v1, v105
	ds_store_b16 v2, v32
	v_lshlrev_b32_e32 v1, 1, v53
	v_lshlrev_b32_e32 v2, 1, v52
	v_lshlrev_b32_e32 v4, 1, v47
	v_lshlrev_b32_e32 v5, 1, v45
	ds_store_b16 v1, v103
	ds_store_b16 v2, v33
	ds_store_b16 v3, v102
	ds_store_b16 v4, v34
	ds_store_b16 v5, v101
	v_lshlrev_b32_e32 v1, 1, v17
	v_lshlrev_b32_e32 v2, 1, v51
	v_lshlrev_b32_e32 v3, 1, v48
	v_lshlrev_b32_e32 v4, 1, v46
	v_lshlrev_b32_e32 v5, 1, v24
	ds_store_b16 v1, v35
	ds_store_b16 v2, v99
	ds_store_b16 v3, v36
	ds_store_b16 v4, v98
	ds_store_b16 v5, v37
	v_lshlrev_b32_e32 v1, 1, v73
	v_lshlrev_b32_e32 v2, 1, v72
	v_lshlrev_b32_e32 v3, 1, v71
	v_lshlrev_b32_e32 v4, 1, v70
	v_lshlrev_b32_e32 v5, 1, v69
	ds_store_b16 v1, v94
	ds_store_b16 v2, v38
	ds_store_b16 v3, v95
	ds_store_b16 v4, v39
	ds_store_b16 v5, v93
	v_lshlrev_b32_e32 v1, 1, v68
	v_lshlrev_b32_e32 v2, 1, v67
	v_lshlrev_b32_e32 v3, 1, v66
	v_lshlrev_b32_e32 v4, 1, v65
	v_lshlrev_b32_e32 v5, 1, v64
	ds_store_b16 v1, v40
	ds_store_b16 v2, v91
	ds_store_b16 v3, v41
	ds_store_b16 v4, v90
	ds_store_b16 v5, v42
	v_lshlrev_b32_e32 v1, 1, v60
	v_lshlrev_b32_e32 v2, 1, v59
	v_lshlrev_b32_e32 v3, 1, v57
	v_lshlrev_b32_e32 v4, 1, v56
	v_lshlrev_b32_e32 v5, 1, v55
	ds_store_b16 v1, v89
	ds_store_b16 v2, v43
	ds_store_b16 v3, v88
	ds_store_b16 v4, v49
	ds_store_b16 v5, v86
	v_lshlrev_b32_e32 v1, 1, v44
	v_lshlrev_b32_e32 v2, 1, v22
	v_lshlrev_b32_e32 v3, 1, v21
	;; [unrolled: 1-line block ×4, first 2 shown]
	ds_store_b16 v1, v54
	ds_store_b16 v2, v18
	;; [unrolled: 1-line block ×5, first 2 shown]
	s_waitcnt vmcnt(0) lgkmcnt(0)
	s_waitcnt_vscnt null, 0x0
	; wave barrier
	s_waitcnt lgkmcnt(0)
	buffer_gl0_inv
	ds_load_b128 v[1:4], v28
	ds_load_b128 v[5:8], v28 offset:16
	ds_load_b128 v[9:12], v28 offset:32
	;; [unrolled: 1-line block ×3, first 2 shown]
	s_waitcnt vmcnt(0) lgkmcnt(0)
	s_waitcnt_vscnt null, 0x0
	; wave barrier
	s_waitcnt lgkmcnt(0)
	buffer_gl0_inv
	s_and_saveexec_b32 s3, s2
	s_cbranch_execz .LBB4_16
; %bb.14:
	v_dual_mov_b32 v18, 0xc0 :: v_dual_add_nc_u32 v17, 24, v27
	v_mov_b32_e32 v19, v0
	s_mov_b32 s4, 0
.LBB4_15:                               ; =>This Inner Loop Header: Depth=1
	s_delay_alu instid0(VALU_DEP_1) | instskip(SKIP_4) | instid1(SALU_CYCLE_1)
	v_add_nc_u32_e32 v19, 6, v19
	ds_store_2addr_b32 v17, v18, v18 offset1:18
	v_add_nc_u32_e32 v17, 24, v17
	v_cmp_lt_u32_e32 vcc_lo, 17, v19
	s_or_b32 s4, vcc_lo, s4
	s_and_not1_b32 exec_lo, exec_lo, s4
	s_cbranch_execnz .LBB4_15
.LBB4_16:
	s_or_b32 exec_lo, exec_lo, s3
	v_lshrrev_b32_e32 v18, 16, v16
	v_and_b32_e32 v17, 0xffff, v16
	s_mov_b32 s3, exec_lo
	s_waitcnt vmcnt(0) lgkmcnt(0)
	s_waitcnt_vscnt null, 0x0
	; wave barrier
	s_waitcnt lgkmcnt(0)
	buffer_gl0_inv
	ds_store_b16 v25, v18
	v_cmpx_ne_u16_e64 v16, v18
	s_cbranch_execz .LBB4_18
; %bb.17:
	v_and_b32_e32 v18, 0xffff, v18
	v_or_b32_e32 v19, 31, v26
	v_lshlrev_b32_e32 v20, 2, v17
	s_delay_alu instid0(VALU_DEP_3)
	v_lshlrev_b32_e32 v18, 2, v18
	ds_store_b32 v18, v19 offset:24
	ds_store_b32 v20, v19 offset:96
.LBB4_18:
	s_or_b32 exec_lo, exec_lo, s3
	v_lshrrev_b32_e32 v19, 16, v15
	s_mov_b32 s3, exec_lo
	s_delay_alu instid0(VALU_DEP_1)
	v_and_b32_e32 v18, 0xffff, v19
	v_cmpx_ne_u16_e64 v19, v16
	s_cbranch_execz .LBB4_20
; %bb.19:
	v_or_b32_e32 v16, 30, v26
	v_lshlrev_b32_e32 v17, 2, v17
	v_lshlrev_b32_e32 v20, 2, v18
	ds_store_b32 v17, v16 offset:24
	ds_store_b32 v20, v16 offset:96
.LBB4_20:
	s_or_b32 exec_lo, exec_lo, s3
	v_and_b32_e32 v16, 0xffff, v15
	s_mov_b32 s3, exec_lo
	v_cmpx_ne_u16_e64 v15, v19
	s_cbranch_execz .LBB4_22
; %bb.21:
	v_or_b32_e32 v17, 29, v26
	v_lshlrev_b32_e32 v18, 2, v18
	v_lshlrev_b32_e32 v19, 2, v16
	ds_store_b32 v18, v17 offset:24
	ds_store_b32 v19, v17 offset:96
.LBB4_22:
	s_or_b32 exec_lo, exec_lo, s3
	v_lshrrev_b32_e32 v18, 16, v14
	s_mov_b32 s3, exec_lo
	s_delay_alu instid0(VALU_DEP_1)
	v_and_b32_e32 v17, 0xffff, v18
	v_cmpx_ne_u16_e64 v18, v15
	s_cbranch_execz .LBB4_24
; %bb.23:
	v_or_b32_e32 v15, 28, v26
	v_lshlrev_b32_e32 v16, 2, v16
	v_lshlrev_b32_e32 v19, 2, v17
	ds_store_b32 v16, v15 offset:24
	ds_store_b32 v19, v15 offset:96
.LBB4_24:
	s_or_b32 exec_lo, exec_lo, s3
	v_and_b32_e32 v15, 0xffff, v14
	s_mov_b32 s3, exec_lo
	v_cmpx_ne_u16_e64 v14, v18
	s_cbranch_execz .LBB4_26
; %bb.25:
	v_or_b32_e32 v16, 27, v26
	v_lshlrev_b32_e32 v17, 2, v17
	v_lshlrev_b32_e32 v18, 2, v15
	ds_store_b32 v17, v16 offset:24
	ds_store_b32 v18, v16 offset:96
.LBB4_26:
	;; [unrolled: 26-line block ×15, first 2 shown]
	s_or_b32 exec_lo, exec_lo, s3
	v_cmp_eq_u32_e32 vcc_lo, 0, v0
	s_mov_b32 s4, exec_lo
	s_waitcnt vmcnt(0) lgkmcnt(0)
	s_waitcnt_vscnt null, 0x0
	; wave barrier
	s_waitcnt lgkmcnt(0)
	buffer_gl0_inv
	v_cmpx_ne_u32_e32 0, v0
	s_cbranch_execz .LBB4_81
; %bb.79:
	v_add_nc_u32_e32 v3, -2, v25
	ds_load_u16 v4, v3
	s_waitcnt lgkmcnt(0)
	v_cmp_ne_u16_e64 s3, v4, v1
	s_delay_alu instid0(VALU_DEP_1)
	s_and_b32 exec_lo, exec_lo, s3
	s_cbranch_execz .LBB4_81
; %bb.80:
	v_lshlrev_b32_e32 v1, 2, v2
	ds_store_b32 v1, v26 offset:24
	ds_load_u16 v1, v3
	s_waitcnt lgkmcnt(0)
	v_lshlrev_b32_e32 v1, 2, v1
	ds_store_b32 v1, v26 offset:96
.LBB4_81:
	s_or_b32 exec_lo, exec_lo, s4
	s_waitcnt vmcnt(0) lgkmcnt(0)
	s_waitcnt_vscnt null, 0x0
	; wave barrier
	s_waitcnt lgkmcnt(0)
	buffer_gl0_inv
	s_and_saveexec_b32 s3, vcc_lo
	s_cbranch_execz .LBB4_83
; %bb.82:
	v_dual_mov_b32 v2, 0 :: v_dual_lshlrev_b32 v1, 2, v2
	ds_store_b32 v1, v2 offset:24
.LBB4_83:
	s_or_b32 exec_lo, exec_lo, s3
	s_waitcnt vmcnt(0) lgkmcnt(0)
	s_waitcnt_vscnt null, 0x0
	; wave barrier
	s_waitcnt lgkmcnt(0)
	buffer_gl0_inv
	s_and_saveexec_b32 s3, s2
	s_cbranch_execnz .LBB4_93
; %bb.84:
	s_or_b32 exec_lo, exec_lo, s3
	s_and_saveexec_b32 s3, s1
	s_cbranch_execnz .LBB4_94
.LBB4_85:
	s_or_b32 exec_lo, exec_lo, s3
	s_and_saveexec_b32 s3, s0
	s_cbranch_execz .LBB4_87
.LBB4_86:
	v_lshlrev_b32_e32 v1, 2, v0
	ds_load_2addr_b32 v[1:2], v1 offset0:18 offset1:36
	ds_load_u16 v3, v25 offset:408
	s_waitcnt lgkmcnt(1)
	v_sub_nc_u32_e32 v1, v2, v1
	s_waitcnt lgkmcnt(0)
	s_delay_alu instid0(VALU_DEP_1)
	v_add_nc_u16 v1, v3, v1
	ds_store_b16 v25, v1 offset:408
.LBB4_87:
	s_or_b32 exec_lo, exec_lo, s3
	s_mul_i32 s3, s15, 18
	s_waitcnt lgkmcnt(0)
	v_mov_b32_e32 v1, s3
	; wave barrier
	buffer_gl0_inv
	s_and_saveexec_b32 s4, s2
	s_cbranch_execnz .LBB4_95
; %bb.88:
	s_or_b32 exec_lo, exec_lo, s4
	s_and_saveexec_b32 s2, s1
	s_cbranch_execnz .LBB4_96
.LBB4_89:
	s_or_b32 exec_lo, exec_lo, s2
	s_and_saveexec_b32 s1, s0
	s_cbranch_execnz .LBB4_97
.LBB4_90:
	s_nop 0
	s_sendmsg sendmsg(MSG_DEALLOC_VGPRS)
	s_endpgm
.LBB4_91:
	ds_store_b16 v25, v17 offset:384
	s_or_b32 exec_lo, exec_lo, s0
	v_cmp_gt_u32_e64 s1, 12, v0
	s_delay_alu instid0(VALU_DEP_1)
	s_and_saveexec_b32 s0, s1
	s_cbranch_execz .LBB4_2
.LBB4_92:
	v_mov_b32_e32 v17, 0
	ds_store_b16 v25, v17 offset:396
	s_or_b32 exec_lo, exec_lo, s0
	v_cmp_gt_u32_e64 s0, 6, v0
	s_delay_alu instid0(VALU_DEP_1)
	s_and_saveexec_b32 s3, s0
	s_cbranch_execnz .LBB4_3
	s_branch .LBB4_4
.LBB4_93:
	v_lshlrev_b32_e32 v1, 2, v0
	ds_load_2addr_b32 v[1:2], v1 offset0:6 offset1:24
	ds_load_u16 v3, v25 offset:384
	s_waitcnt lgkmcnt(1)
	v_sub_nc_u32_e32 v1, v2, v1
	s_waitcnt lgkmcnt(0)
	s_delay_alu instid0(VALU_DEP_1)
	v_add_nc_u16 v1, v3, v1
	ds_store_b16 v25, v1 offset:384
	s_or_b32 exec_lo, exec_lo, s3
	s_and_saveexec_b32 s3, s1
	s_cbranch_execz .LBB4_85
.LBB4_94:
	v_lshlrev_b32_e32 v1, 2, v0
	ds_load_2addr_b32 v[1:2], v1 offset0:12 offset1:30
	ds_load_u16 v3, v25 offset:396
	s_waitcnt lgkmcnt(1)
	v_sub_nc_u32_e32 v1, v2, v1
	s_waitcnt lgkmcnt(0)
	s_delay_alu instid0(VALU_DEP_1)
	v_add_nc_u16 v1, v3, v1
	ds_store_b16 v25, v1 offset:396
	s_or_b32 exec_lo, exec_lo, s3
	s_and_saveexec_b32 s3, s0
	s_cbranch_execnz .LBB4_86
	s_branch .LBB4_87
.LBB4_95:
	ds_load_u16 v5, v25 offset:384
	v_dual_mov_b32 v2, 0 :: v_dual_add_nc_u32 v1, s3, v0
	s_add_i32 s2, s3, 6
	s_delay_alu instid0(VALU_DEP_1) | instskip(NEXT) | instid1(VALU_DEP_1)
	v_lshlrev_b64 v[1:2], 1, v[1:2]
	v_add_co_u32 v3, vcc_lo, s10, v1
	s_delay_alu instid0(VALU_DEP_2)
	v_add_co_ci_u32_e32 v4, vcc_lo, s11, v2, vcc_lo
	v_mov_b32_e32 v1, s2
	s_waitcnt lgkmcnt(0)
	global_store_b16 v[3:4], v5, off
	s_or_b32 exec_lo, exec_lo, s4
	s_and_saveexec_b32 s2, s1
	s_cbranch_execz .LBB4_89
.LBB4_96:
	ds_load_u16 v4, v25 offset:396
	v_dual_mov_b32 v3, 0 :: v_dual_add_nc_u32 v2, v1, v0
	v_add_nc_u32_e32 v1, 6, v1
	s_delay_alu instid0(VALU_DEP_2) | instskip(NEXT) | instid1(VALU_DEP_1)
	v_lshlrev_b64 v[2:3], 1, v[2:3]
	v_add_co_u32 v2, vcc_lo, s10, v2
	s_delay_alu instid0(VALU_DEP_2)
	v_add_co_ci_u32_e32 v3, vcc_lo, s11, v3, vcc_lo
	s_waitcnt lgkmcnt(0)
	global_store_b16 v[2:3], v4, off
	s_or_b32 exec_lo, exec_lo, s2
	s_and_saveexec_b32 s1, s0
	s_cbranch_execz .LBB4_90
.LBB4_97:
	ds_load_u16 v2, v25 offset:408
	v_dual_mov_b32 v1, 0 :: v_dual_add_nc_u32 v0, v1, v0
	s_delay_alu instid0(VALU_DEP_1) | instskip(NEXT) | instid1(VALU_DEP_1)
	v_lshlrev_b64 v[0:1], 1, v[0:1]
	v_add_co_u32 v0, vcc_lo, s10, v0
	s_delay_alu instid0(VALU_DEP_2)
	v_add_co_ci_u32_e32 v1, vcc_lo, s11, v1, vcc_lo
	s_waitcnt lgkmcnt(0)
	global_store_b16 v[0:1], v2, off
	s_nop 0
	s_sendmsg sendmsg(MSG_DEALLOC_VGPRS)
	s_endpgm
	.section	.rodata,"a",@progbits
	.p2align	6, 0x0
	.amdhsa_kernel _Z16histogram_kernelILj6ELj32ELj18ELN6hipcub23BlockHistogramAlgorithmE1EtEvPT3_S3_
		.amdhsa_group_segment_fixed_size 420
		.amdhsa_private_segment_fixed_size 0
		.amdhsa_kernarg_size 16
		.amdhsa_user_sgpr_count 15
		.amdhsa_user_sgpr_dispatch_ptr 0
		.amdhsa_user_sgpr_queue_ptr 0
		.amdhsa_user_sgpr_kernarg_segment_ptr 1
		.amdhsa_user_sgpr_dispatch_id 0
		.amdhsa_user_sgpr_private_segment_size 0
		.amdhsa_wavefront_size32 1
		.amdhsa_uses_dynamic_stack 0
		.amdhsa_enable_private_segment 0
		.amdhsa_system_sgpr_workgroup_id_x 1
		.amdhsa_system_sgpr_workgroup_id_y 0
		.amdhsa_system_sgpr_workgroup_id_z 0
		.amdhsa_system_sgpr_workgroup_info 0
		.amdhsa_system_vgpr_workitem_id 0
		.amdhsa_next_free_vgpr 129
		.amdhsa_next_free_sgpr 16
		.amdhsa_reserve_vcc 1
		.amdhsa_float_round_mode_32 0
		.amdhsa_float_round_mode_16_64 0
		.amdhsa_float_denorm_mode_32 3
		.amdhsa_float_denorm_mode_16_64 3
		.amdhsa_dx10_clamp 1
		.amdhsa_ieee_mode 1
		.amdhsa_fp16_overflow 0
		.amdhsa_workgroup_processor_mode 1
		.amdhsa_memory_ordered 1
		.amdhsa_forward_progress 0
		.amdhsa_shared_vgpr_count 0
		.amdhsa_exception_fp_ieee_invalid_op 0
		.amdhsa_exception_fp_denorm_src 0
		.amdhsa_exception_fp_ieee_div_zero 0
		.amdhsa_exception_fp_ieee_overflow 0
		.amdhsa_exception_fp_ieee_underflow 0
		.amdhsa_exception_fp_ieee_inexact 0
		.amdhsa_exception_int_div_zero 0
	.end_amdhsa_kernel
	.section	.text._Z16histogram_kernelILj6ELj32ELj18ELN6hipcub23BlockHistogramAlgorithmE1EtEvPT3_S3_,"axG",@progbits,_Z16histogram_kernelILj6ELj32ELj18ELN6hipcub23BlockHistogramAlgorithmE1EtEvPT3_S3_,comdat
.Lfunc_end4:
	.size	_Z16histogram_kernelILj6ELj32ELj18ELN6hipcub23BlockHistogramAlgorithmE1EtEvPT3_S3_, .Lfunc_end4-_Z16histogram_kernelILj6ELj32ELj18ELN6hipcub23BlockHistogramAlgorithmE1EtEvPT3_S3_
                                        ; -- End function
	.section	.AMDGPU.csdata,"",@progbits
; Kernel info:
; codeLenInByte = 7684
; NumSgprs: 18
; NumVgprs: 129
; ScratchSize: 0
; MemoryBound: 0
; FloatMode: 240
; IeeeMode: 1
; LDSByteSize: 420 bytes/workgroup (compile time only)
; SGPRBlocks: 2
; VGPRBlocks: 16
; NumSGPRsForWavesPerEU: 18
; NumVGPRsForWavesPerEU: 129
; Occupancy: 10
; WaveLimiterHint : 0
; COMPUTE_PGM_RSRC2:SCRATCH_EN: 0
; COMPUTE_PGM_RSRC2:USER_SGPR: 15
; COMPUTE_PGM_RSRC2:TRAP_HANDLER: 0
; COMPUTE_PGM_RSRC2:TGID_X_EN: 1
; COMPUTE_PGM_RSRC2:TGID_Y_EN: 0
; COMPUTE_PGM_RSRC2:TGID_Z_EN: 0
; COMPUTE_PGM_RSRC2:TIDIG_COMP_CNT: 0
	.section	.text._Z16histogram_kernelILj1024ELj1ELj1024ELN6hipcub23BlockHistogramAlgorithmE1EhEvPT3_S3_,"axG",@progbits,_Z16histogram_kernelILj1024ELj1ELj1024ELN6hipcub23BlockHistogramAlgorithmE1EhEvPT3_S3_,comdat
	.protected	_Z16histogram_kernelILj1024ELj1ELj1024ELN6hipcub23BlockHistogramAlgorithmE1EhEvPT3_S3_ ; -- Begin function _Z16histogram_kernelILj1024ELj1ELj1024ELN6hipcub23BlockHistogramAlgorithmE1EhEvPT3_S3_
	.globl	_Z16histogram_kernelILj1024ELj1ELj1024ELN6hipcub23BlockHistogramAlgorithmE1EhEvPT3_S3_
	.p2align	8
	.type	_Z16histogram_kernelILj1024ELj1ELj1024ELN6hipcub23BlockHistogramAlgorithmE1EhEvPT3_S3_,@function
_Z16histogram_kernelILj1024ELj1ELj1024ELN6hipcub23BlockHistogramAlgorithmE1EhEvPT3_S3_: ; @_Z16histogram_kernelILj1024ELj1ELj1024ELN6hipcub23BlockHistogramAlgorithmE1EhEvPT3_S3_
; %bb.0:
	s_load_b128 s[4:7], s[0:1], 0x0
	v_and_b32_e32 v1, 0x3ff, v0
	v_bfe_u32 v2, v0, 10, 10
	v_bfe_u32 v3, v0, 20, 10
	s_load_b32 s1, s[0:1], 0x1c
	s_delay_alu instid0(VALU_DEP_3)
	v_lshl_or_b32 v10, s15, 10, v1
	s_waitcnt lgkmcnt(0)
	global_load_u8 v11, v10, s[4:5]
	v_mov_b32_e32 v5, 0
	s_lshr_b32 s2, s1, 16
	s_waitcnt vmcnt(0)
	v_and_b32_e32 v0, 1, v11
	v_lshlrev_b32_e32 v4, 30, v11
	v_lshlrev_b32_e32 v6, 29, v11
	;; [unrolled: 1-line block ×4, first 2 shown]
	v_add_co_u32 v0, s0, v0, -1
	s_delay_alu instid0(VALU_DEP_1)
	v_cndmask_b32_e64 v8, 0, 1, s0
	v_not_b32_e32 v14, v4
	v_cmp_gt_i32_e64 s0, 0, v4
	v_not_b32_e32 v4, v6
	v_lshlrev_b32_e32 v12, 26, v11
	v_cmp_ne_u32_e32 vcc_lo, 0, v8
	v_ashrrev_i32_e32 v14, 31, v14
	v_lshlrev_b32_e32 v13, 25, v11
	v_ashrrev_i32_e32 v4, 31, v4
	v_lshlrev_b32_e32 v8, 24, v11
	v_xor_b32_e32 v0, vcc_lo, v0
	v_cmp_gt_i32_e32 vcc_lo, 0, v6
	v_not_b32_e32 v6, v7
	v_xor_b32_e32 v14, s0, v14
	v_cmp_gt_i32_e64 s0, 0, v7
	v_and_b32_e32 v0, exec_lo, v0
	v_not_b32_e32 v7, v9
	v_ashrrev_i32_e32 v6, 31, v6
	v_xor_b32_e32 v4, vcc_lo, v4
	v_cmp_gt_i32_e32 vcc_lo, 0, v9
	v_and_b32_e32 v0, v0, v14
	v_not_b32_e32 v9, v12
	v_ashrrev_i32_e32 v7, 31, v7
	v_xor_b32_e32 v6, s0, v6
	v_cmp_gt_i32_e64 s0, 0, v12
	v_and_b32_e32 v0, v0, v4
	v_not_b32_e32 v4, v13
	v_ashrrev_i32_e32 v9, 31, v9
	v_xor_b32_e32 v7, vcc_lo, v7
	v_cmp_gt_i32_e32 vcc_lo, 0, v13
	v_and_b32_e32 v0, v0, v6
	v_not_b32_e32 v6, v8
	v_ashrrev_i32_e32 v4, 31, v4
	v_xor_b32_e32 v9, s0, v9
	v_cmp_gt_i32_e64 s0, 0, v8
	v_and_b32_e32 v7, v0, v7
	v_ashrrev_i32_e32 v6, 31, v6
	v_xor_b32_e32 v4, vcc_lo, v4
	v_lshlrev_b32_e32 v0, 5, v1
	ds_store_b8 v1, v5 offset:32896
	v_and_b32_e32 v7, v7, v9
	v_xor_b32_e32 v6, s0, v6
	s_and_b32 s0, s1, 0xffff
	v_add_nc_u32_e32 v12, 0x80, v0
	s_waitcnt lgkmcnt(0)
	v_and_b32_e32 v4, v7, v4
	v_mad_u32_u24 v7, v3, s2, v2
	s_barrier
	buffer_gl0_inv
	ds_store_2addr_b32 v0, v5, v5 offset0:32 offset1:33
	ds_store_2addr_b32 v0, v5, v5 offset0:34 offset1:35
	;; [unrolled: 1-line block ×4, first 2 shown]
	v_and_b32_e32 v2, v4, v6
	s_waitcnt lgkmcnt(0)
	s_barrier
	buffer_gl0_inv
	v_mad_u64_u32 v[3:4], null, v7, s0, v[1:2]
	v_and_b32_e32 v4, 0xff, v11
	v_mbcnt_lo_u32_b32 v13, v2, 0
	v_cmp_ne_u32_e64 s0, 0, v2
	; wave barrier
	s_delay_alu instid0(VALU_DEP_3) | instskip(SKIP_1) | instid1(VALU_DEP_4)
	v_lshlrev_b32_e32 v4, 5, v4
	v_lshrrev_b32_e32 v3, 5, v3
	v_cmp_eq_u32_e32 vcc_lo, 0, v13
	s_delay_alu instid0(VALU_DEP_2) | instskip(SKIP_1) | instid1(SALU_CYCLE_1)
	v_add_lshl_u32 v14, v3, v4, 2
	s_and_b32 s1, s0, vcc_lo
	s_and_saveexec_b32 s0, s1
	s_cbranch_execz .LBB5_2
; %bb.1:
	v_bcnt_u32_b32 v2, v2, 0
	ds_store_b32 v14, v2 offset:128
.LBB5_2:
	s_or_b32 exec_lo, exec_lo, s0
	; wave barrier
	s_waitcnt lgkmcnt(0)
	s_barrier
	buffer_gl0_inv
	ds_load_2addr_b32 v[8:9], v0 offset0:32 offset1:33
	ds_load_2addr_b32 v[6:7], v12 offset0:2 offset1:3
	;; [unrolled: 1-line block ×4, first 2 shown]
	v_and_b32_e32 v19, 31, v1
	s_mov_b32 s5, exec_lo
	s_waitcnt lgkmcnt(3)
	v_add_nc_u32_e32 v15, v9, v8
	s_waitcnt lgkmcnt(2)
	s_delay_alu instid0(VALU_DEP_1) | instskip(SKIP_1) | instid1(VALU_DEP_1)
	v_add3_u32 v15, v15, v6, v7
	s_waitcnt lgkmcnt(1)
	v_add3_u32 v16, v15, v2, v3
	v_mbcnt_lo_u32_b32 v15, -1, 0
	s_waitcnt lgkmcnt(0)
	s_delay_alu instid0(VALU_DEP_2) | instskip(NEXT) | instid1(VALU_DEP_2)
	v_add3_u32 v5, v16, v4, v5
	v_and_b32_e32 v16, 15, v15
	v_and_b32_e32 v18, 16, v15
	s_delay_alu instid0(VALU_DEP_3) | instskip(NEXT) | instid1(VALU_DEP_3)
	v_mov_b32_dpp v17, v5 row_shr:1 row_mask:0xf bank_mask:0xf
	v_cmp_eq_u32_e32 vcc_lo, 0, v16
	v_cmp_lt_u32_e64 s0, 1, v16
	v_cmp_lt_u32_e64 s1, 3, v16
	;; [unrolled: 1-line block ×3, first 2 shown]
	v_cmp_eq_u32_e64 s3, 0, v18
	v_cndmask_b32_e64 v17, v17, 0, vcc_lo
	s_delay_alu instid0(VALU_DEP_1) | instskip(NEXT) | instid1(VALU_DEP_1)
	v_add_nc_u32_e32 v5, v17, v5
	v_mov_b32_dpp v17, v5 row_shr:2 row_mask:0xf bank_mask:0xf
	s_delay_alu instid0(VALU_DEP_1) | instskip(NEXT) | instid1(VALU_DEP_1)
	v_cndmask_b32_e64 v17, 0, v17, s0
	v_add_nc_u32_e32 v5, v5, v17
	s_delay_alu instid0(VALU_DEP_1) | instskip(NEXT) | instid1(VALU_DEP_1)
	v_mov_b32_dpp v17, v5 row_shr:4 row_mask:0xf bank_mask:0xf
	v_cndmask_b32_e64 v17, 0, v17, s1
	s_delay_alu instid0(VALU_DEP_1) | instskip(NEXT) | instid1(VALU_DEP_1)
	v_add_nc_u32_e32 v5, v5, v17
	v_mov_b32_dpp v17, v5 row_shr:8 row_mask:0xf bank_mask:0xf
	s_delay_alu instid0(VALU_DEP_1) | instskip(SKIP_1) | instid1(VALU_DEP_2)
	v_cndmask_b32_e64 v16, 0, v17, s2
	v_bfe_i32 v17, v15, 4, 1
	v_add_nc_u32_e32 v5, v5, v16
	ds_swizzle_b32 v16, v5 offset:swizzle(BROADCAST,32,15)
	s_waitcnt lgkmcnt(0)
	v_and_b32_e32 v16, v17, v16
	v_lshrrev_b32_e32 v17, 5, v1
	s_delay_alu instid0(VALU_DEP_2)
	v_add_nc_u32_e32 v16, v5, v16
	v_cmpx_eq_u32_e32 31, v19
	s_cbranch_execz .LBB5_4
; %bb.3:
	s_delay_alu instid0(VALU_DEP_3)
	v_lshlrev_b32_e32 v5, 2, v17
	ds_store_b32 v5, v16
.LBB5_4:
	s_or_b32 exec_lo, exec_lo, s5
	v_cmp_lt_u32_e64 s4, 31, v1
	v_lshlrev_b32_e32 v5, 2, v1
	s_mov_b32 s8, exec_lo
	s_waitcnt lgkmcnt(0)
	s_barrier
	buffer_gl0_inv
	v_cmpx_gt_u32_e32 32, v1
	s_cbranch_execz .LBB5_6
; %bb.5:
	ds_load_b32 v18, v5
	s_waitcnt lgkmcnt(0)
	v_mov_b32_dpp v19, v18 row_shr:1 row_mask:0xf bank_mask:0xf
	s_delay_alu instid0(VALU_DEP_1) | instskip(NEXT) | instid1(VALU_DEP_1)
	v_cndmask_b32_e64 v19, v19, 0, vcc_lo
	v_add_nc_u32_e32 v18, v19, v18
	s_delay_alu instid0(VALU_DEP_1) | instskip(NEXT) | instid1(VALU_DEP_1)
	v_mov_b32_dpp v19, v18 row_shr:2 row_mask:0xf bank_mask:0xf
	v_cndmask_b32_e64 v19, 0, v19, s0
	s_delay_alu instid0(VALU_DEP_1) | instskip(NEXT) | instid1(VALU_DEP_1)
	v_add_nc_u32_e32 v18, v18, v19
	v_mov_b32_dpp v19, v18 row_shr:4 row_mask:0xf bank_mask:0xf
	s_delay_alu instid0(VALU_DEP_1) | instskip(NEXT) | instid1(VALU_DEP_1)
	v_cndmask_b32_e64 v19, 0, v19, s1
	v_add_nc_u32_e32 v18, v18, v19
	s_delay_alu instid0(VALU_DEP_1) | instskip(NEXT) | instid1(VALU_DEP_1)
	v_mov_b32_dpp v19, v18 row_shr:8 row_mask:0xf bank_mask:0xf
	v_cndmask_b32_e64 v19, 0, v19, s2
	s_delay_alu instid0(VALU_DEP_1) | instskip(SKIP_3) | instid1(VALU_DEP_1)
	v_add_nc_u32_e32 v18, v18, v19
	ds_swizzle_b32 v19, v18 offset:swizzle(BROADCAST,32,15)
	s_waitcnt lgkmcnt(0)
	v_cndmask_b32_e64 v19, v19, 0, s3
	v_add_nc_u32_e32 v18, v18, v19
	ds_store_b32 v5, v18
.LBB5_6:
	s_or_b32 exec_lo, exec_lo, s8
	v_mov_b32_e32 v18, 0
	s_waitcnt lgkmcnt(0)
	s_barrier
	buffer_gl0_inv
	s_and_saveexec_b32 s0, s4
	s_cbranch_execz .LBB5_8
; %bb.7:
	v_lshl_add_u32 v17, v17, 2, -4
	ds_load_b32 v18, v17
.LBB5_8:
	s_or_b32 exec_lo, exec_lo, s0
	v_add_nc_u32_e32 v17, -1, v15
	s_mov_b32 s1, exec_lo
	s_waitcnt lgkmcnt(0)
	v_add_nc_u32_e32 v16, v18, v16
	s_delay_alu instid0(VALU_DEP_2) | instskip(SKIP_2) | instid1(VALU_DEP_2)
	v_cmp_gt_i32_e32 vcc_lo, 0, v17
	v_cndmask_b32_e32 v17, v17, v15, vcc_lo
	v_cmp_eq_u32_e32 vcc_lo, 0, v15
	v_lshlrev_b32_e32 v17, 2, v17
	ds_bpermute_b32 v16, v17, v16
	s_waitcnt lgkmcnt(0)
	v_cndmask_b32_e32 v15, v16, v18, vcc_lo
	v_cmp_eq_u32_e32 vcc_lo, 0, v1
	s_delay_alu instid0(VALU_DEP_2) | instskip(NEXT) | instid1(VALU_DEP_1)
	v_cndmask_b32_e64 v15, v15, 0, vcc_lo
	v_add_nc_u32_e32 v8, v15, v8
	s_delay_alu instid0(VALU_DEP_1) | instskip(NEXT) | instid1(VALU_DEP_1)
	v_add_nc_u32_e32 v9, v8, v9
	v_add_nc_u32_e32 v6, v9, v6
	s_delay_alu instid0(VALU_DEP_1) | instskip(NEXT) | instid1(VALU_DEP_1)
	v_add_nc_u32_e32 v7, v6, v7
	;; [unrolled: 3-line block ×3, first 2 shown]
	v_add_nc_u32_e32 v4, v3, v4
	ds_store_2addr_b32 v0, v15, v8 offset0:32 offset1:33
	ds_store_2addr_b32 v12, v9, v6 offset0:2 offset1:3
	;; [unrolled: 1-line block ×4, first 2 shown]
	s_waitcnt lgkmcnt(0)
	s_barrier
	buffer_gl0_inv
	ds_load_b32 v0, v14 offset:128
	s_waitcnt lgkmcnt(0)
	s_barrier
	buffer_gl0_inv
	v_add_nc_u32_e32 v0, v0, v13
	ds_store_b8 v0, v11
	s_waitcnt lgkmcnt(0)
	s_barrier
	buffer_gl0_inv
	ds_load_u8 v2, v1
	v_mov_b32_e32 v0, 0x400
	s_waitcnt lgkmcnt(0)
	s_barrier
	buffer_gl0_inv
	ds_store_2addr_stride64_b32 v5, v0, v0 offset0:8 offset1:24
	s_waitcnt lgkmcnt(0)
	s_barrier
	buffer_gl0_inv
	v_and_b32_e32 v0, 0xff, v2
	ds_store_b8 v1, v2
	s_waitcnt lgkmcnt(0)
	s_barrier
	buffer_gl0_inv
	v_cmpx_ne_u32_e32 0, v1
	s_cbranch_execz .LBB5_11
; %bb.9:
	v_add_nc_u32_e32 v2, -1, v1
	ds_load_u8 v2, v2
	s_waitcnt lgkmcnt(0)
	v_cmp_ne_u16_e64 s0, v2, v0
	s_delay_alu instid0(VALU_DEP_1)
	s_and_b32 exec_lo, exec_lo, s0
	s_cbranch_execz .LBB5_11
; %bb.10:
	v_and_b32_e32 v2, 0xffff, v2
	v_lshlrev_b32_e32 v3, 2, v0
	s_delay_alu instid0(VALU_DEP_2)
	v_lshlrev_b32_e32 v2, 2, v2
	ds_store_b32 v3, v1 offset:2048
	ds_store_b32 v2, v1 offset:6144
.LBB5_11:
	s_or_b32 exec_lo, exec_lo, s1
	s_waitcnt lgkmcnt(0)
	s_barrier
	buffer_gl0_inv
	s_and_saveexec_b32 s0, vcc_lo
	s_cbranch_execz .LBB5_13
; %bb.12:
	v_lshlrev_b32_e32 v0, 2, v0
	v_mov_b32_e32 v2, 0
	ds_store_b32 v0, v2 offset:2048
.LBB5_13:
	s_or_b32 exec_lo, exec_lo, s0
	s_waitcnt lgkmcnt(0)
	s_barrier
	buffer_gl0_inv
	ds_load_2addr_stride64_b32 v[2:3], v5 offset0:8 offset1:24
	ds_load_u8 v0, v1 offset:32896
	s_waitcnt lgkmcnt(1)
	v_sub_nc_u32_e32 v2, v3, v2
	s_waitcnt lgkmcnt(0)
	s_delay_alu instid0(VALU_DEP_1)
	v_add_nc_u16 v0, v0, v2
	ds_store_b8 v1, v0 offset:32896
	s_waitcnt lgkmcnt(0)
	s_barrier
	buffer_gl0_inv
	ds_load_u8 v2, v1 offset:32896
	v_add_co_u32 v0, s0, s6, v10
	s_delay_alu instid0(VALU_DEP_1)
	v_add_co_ci_u32_e64 v1, null, s7, 0, s0
	s_waitcnt lgkmcnt(0)
	global_store_b8 v[0:1], v2, off
	s_nop 0
	s_sendmsg sendmsg(MSG_DEALLOC_VGPRS)
	s_endpgm
	.section	.rodata,"a",@progbits
	.p2align	6, 0x0
	.amdhsa_kernel _Z16histogram_kernelILj1024ELj1ELj1024ELN6hipcub23BlockHistogramAlgorithmE1EhEvPT3_S3_
		.amdhsa_group_segment_fixed_size 33920
		.amdhsa_private_segment_fixed_size 0
		.amdhsa_kernarg_size 272
		.amdhsa_user_sgpr_count 15
		.amdhsa_user_sgpr_dispatch_ptr 0
		.amdhsa_user_sgpr_queue_ptr 0
		.amdhsa_user_sgpr_kernarg_segment_ptr 1
		.amdhsa_user_sgpr_dispatch_id 0
		.amdhsa_user_sgpr_private_segment_size 0
		.amdhsa_wavefront_size32 1
		.amdhsa_uses_dynamic_stack 0
		.amdhsa_enable_private_segment 0
		.amdhsa_system_sgpr_workgroup_id_x 1
		.amdhsa_system_sgpr_workgroup_id_y 0
		.amdhsa_system_sgpr_workgroup_id_z 0
		.amdhsa_system_sgpr_workgroup_info 0
		.amdhsa_system_vgpr_workitem_id 2
		.amdhsa_next_free_vgpr 20
		.amdhsa_next_free_sgpr 16
		.amdhsa_reserve_vcc 1
		.amdhsa_float_round_mode_32 0
		.amdhsa_float_round_mode_16_64 0
		.amdhsa_float_denorm_mode_32 3
		.amdhsa_float_denorm_mode_16_64 3
		.amdhsa_dx10_clamp 1
		.amdhsa_ieee_mode 1
		.amdhsa_fp16_overflow 0
		.amdhsa_workgroup_processor_mode 1
		.amdhsa_memory_ordered 1
		.amdhsa_forward_progress 0
		.amdhsa_shared_vgpr_count 0
		.amdhsa_exception_fp_ieee_invalid_op 0
		.amdhsa_exception_fp_denorm_src 0
		.amdhsa_exception_fp_ieee_div_zero 0
		.amdhsa_exception_fp_ieee_overflow 0
		.amdhsa_exception_fp_ieee_underflow 0
		.amdhsa_exception_fp_ieee_inexact 0
		.amdhsa_exception_int_div_zero 0
	.end_amdhsa_kernel
	.section	.text._Z16histogram_kernelILj1024ELj1ELj1024ELN6hipcub23BlockHistogramAlgorithmE1EhEvPT3_S3_,"axG",@progbits,_Z16histogram_kernelILj1024ELj1ELj1024ELN6hipcub23BlockHistogramAlgorithmE1EhEvPT3_S3_,comdat
.Lfunc_end5:
	.size	_Z16histogram_kernelILj1024ELj1ELj1024ELN6hipcub23BlockHistogramAlgorithmE1EhEvPT3_S3_, .Lfunc_end5-_Z16histogram_kernelILj1024ELj1ELj1024ELN6hipcub23BlockHistogramAlgorithmE1EhEvPT3_S3_
                                        ; -- End function
	.section	.AMDGPU.csdata,"",@progbits
; Kernel info:
; codeLenInByte = 1612
; NumSgprs: 18
; NumVgprs: 20
; ScratchSize: 0
; MemoryBound: 0
; FloatMode: 240
; IeeeMode: 1
; LDSByteSize: 33920 bytes/workgroup (compile time only)
; SGPRBlocks: 2
; VGPRBlocks: 2
; NumSGPRsForWavesPerEU: 18
; NumVGPRsForWavesPerEU: 20
; Occupancy: 16
; WaveLimiterHint : 0
; COMPUTE_PGM_RSRC2:SCRATCH_EN: 0
; COMPUTE_PGM_RSRC2:USER_SGPR: 15
; COMPUTE_PGM_RSRC2:TRAP_HANDLER: 0
; COMPUTE_PGM_RSRC2:TGID_X_EN: 1
; COMPUTE_PGM_RSRC2:TGID_Y_EN: 0
; COMPUTE_PGM_RSRC2:TGID_Z_EN: 0
; COMPUTE_PGM_RSRC2:TIDIG_COMP_CNT: 2
	.section	.text._Z16histogram_kernelILj512ELj4ELj512ELN6hipcub23BlockHistogramAlgorithmE1EhEvPT3_S3_,"axG",@progbits,_Z16histogram_kernelILj512ELj4ELj512ELN6hipcub23BlockHistogramAlgorithmE1EhEvPT3_S3_,comdat
	.protected	_Z16histogram_kernelILj512ELj4ELj512ELN6hipcub23BlockHistogramAlgorithmE1EhEvPT3_S3_ ; -- Begin function _Z16histogram_kernelILj512ELj4ELj512ELN6hipcub23BlockHistogramAlgorithmE1EhEvPT3_S3_
	.globl	_Z16histogram_kernelILj512ELj4ELj512ELN6hipcub23BlockHistogramAlgorithmE1EhEvPT3_S3_
	.p2align	8
	.type	_Z16histogram_kernelILj512ELj4ELj512ELN6hipcub23BlockHistogramAlgorithmE1EhEvPT3_S3_,@function
_Z16histogram_kernelILj512ELj4ELj512ELN6hipcub23BlockHistogramAlgorithmE1EhEvPT3_S3_: ; @_Z16histogram_kernelILj512ELj4ELj512ELN6hipcub23BlockHistogramAlgorithmE1EhEvPT3_S3_
; %bb.0:
	s_load_b128 s[4:7], s[0:1], 0x0
	v_and_b32_e32 v1, 0x3ff, v0
	s_delay_alu instid0(VALU_DEP_1) | instskip(SKIP_1) | instid1(VALU_DEP_2)
	v_lshlrev_b32_e32 v10, 2, v1
	v_cmp_gt_u32_e32 vcc_lo, 0x200, v1
	v_lshl_or_b32 v2, s15, 11, v10
	s_waitcnt lgkmcnt(0)
	global_load_b32 v2, v2, s[4:5]
	s_and_saveexec_b32 s2, vcc_lo
	s_cbranch_execz .LBB6_2
; %bb.1:
	v_mov_b32_e32 v3, 0
	ds_store_b8 v1, v3 offset:16448
.LBB6_2:
	s_or_b32 exec_lo, exec_lo, s2
	v_mbcnt_lo_u32_b32 v11, -1, 0
	s_waitcnt vmcnt(0)
	v_and_b32_e32 v3, 0xff, v2
	v_bfe_u32 v5, v2, 8, 8
	v_bfe_u32 v8, v2, 16, 8
	v_lshrrev_b32_e32 v2, 24, v2
	v_and_b32_e32 v4, 28, v11
	v_and_b32_e32 v12, 3, v11
	s_waitcnt lgkmcnt(0)
	s_barrier
	buffer_gl0_inv
	ds_bpermute_b32 v6, v4, v3
	ds_bpermute_b32 v7, v4, v5
	;; [unrolled: 1-line block ×4, first 2 shown]
	v_cmp_eq_u32_e64 s2, 1, v12
	v_cmp_eq_u32_e64 s3, 2, v12
	;; [unrolled: 1-line block ×4, first 2 shown]
	ds_bpermute_b32 v12, v4, v8 offset:32
	s_waitcnt lgkmcnt(0)
	s_barrier
	buffer_gl0_inv
	v_perm_b32 v7, v7, v6, 0x3020104
	s_delay_alu instid0(VALU_DEP_1) | instskip(SKIP_2) | instid1(VALU_DEP_1)
	v_cndmask_b32_e64 v6, v6, v7, s2
	ds_bpermute_b32 v7, v4, v3 offset:32
	v_perm_b32 v9, v9, v6, 0x3020104
	v_cndmask_b32_e64 v6, v6, v9, s3
	s_delay_alu instid0(VALU_DEP_1) | instskip(SKIP_4) | instid1(VALU_DEP_2)
	v_perm_b32 v9, v13, v6, 0x3020104
	ds_bpermute_b32 v13, v4, v5 offset:32
	v_cndmask_b32_e64 v6, v6, v9, s4
	s_waitcnt lgkmcnt(1)
	v_lshlrev_b16 v7, 8, v7
	v_and_b32_e32 v9, 0xff, v6
	s_delay_alu instid0(VALU_DEP_1) | instskip(NEXT) | instid1(VALU_DEP_1)
	v_or_b32_e32 v7, v9, v7
	v_and_b32_e32 v7, 0xffff, v7
	s_delay_alu instid0(VALU_DEP_1) | instskip(NEXT) | instid1(VALU_DEP_1)
	v_and_or_b32 v7, 0xffff0000, v6, v7
	v_cndmask_b32_e64 v6, v6, v7, s5
	s_waitcnt lgkmcnt(0)
	v_lshlrev_b16 v7, 8, v13
	s_delay_alu instid0(VALU_DEP_2) | instskip(NEXT) | instid1(VALU_DEP_1)
	v_and_b32_e32 v9, 0xff, v6
	v_or_b32_e32 v7, v9, v7
	s_delay_alu instid0(VALU_DEP_1) | instskip(NEXT) | instid1(VALU_DEP_1)
	v_and_b32_e32 v7, 0xffff, v7
	v_and_or_b32 v7, 0xffff0000, v6, v7
	s_delay_alu instid0(VALU_DEP_1) | instskip(SKIP_3) | instid1(VALU_DEP_1)
	v_cndmask_b32_e64 v6, v6, v7, s2
	v_lshlrev_b16 v7, 8, v12
	ds_bpermute_b32 v12, v4, v2 offset:32
	v_and_b32_e32 v9, 0xff, v6
	v_or_b32_e32 v7, v9, v7
	s_delay_alu instid0(VALU_DEP_1) | instskip(NEXT) | instid1(VALU_DEP_1)
	v_and_b32_e32 v7, 0xffff, v7
	v_and_or_b32 v7, 0xffff0000, v6, v7
	s_delay_alu instid0(VALU_DEP_1) | instskip(SKIP_2) | instid1(VALU_DEP_2)
	v_cndmask_b32_e64 v6, v6, v7, s3
	s_waitcnt lgkmcnt(0)
	v_lshlrev_b16 v7, 8, v12
	v_and_b32_e32 v9, 0xff, v6
	s_delay_alu instid0(VALU_DEP_1) | instskip(SKIP_3) | instid1(VALU_DEP_1)
	v_or_b32_e32 v7, v9, v7
	ds_bpermute_b32 v9, v4, v3 offset:64
	ds_bpermute_b32 v3, v4, v3 offset:96
	v_and_b32_e32 v7, 0xffff, v7
	v_and_or_b32 v7, 0xffff0000, v6, v7
	s_delay_alu instid0(VALU_DEP_1) | instskip(NEXT) | instid1(VALU_DEP_1)
	v_cndmask_b32_e64 v6, v6, v7, s4
	v_lshrrev_b32_e32 v7, 16, v6
	s_waitcnt lgkmcnt(1)
	v_and_b32_e32 v9, 0xff, v9
	s_waitcnt lgkmcnt(0)
	v_lshlrev_b16 v3, 8, v3
	v_and_b32_e32 v7, 0xffffff00, v7
	s_delay_alu instid0(VALU_DEP_1) | instskip(SKIP_3) | instid1(VALU_DEP_1)
	v_or_b32_e32 v7, v9, v7
	ds_bpermute_b32 v9, v4, v5 offset:64
	ds_bpermute_b32 v5, v4, v5 offset:96
	v_lshlrev_b32_e32 v7, 16, v7
	v_and_or_b32 v7, 0xffff, v6, v7
	s_delay_alu instid0(VALU_DEP_1) | instskip(NEXT) | instid1(VALU_DEP_1)
	v_cndmask_b32_e64 v6, v6, v7, s5
	v_lshrrev_b32_e32 v7, 16, v6
	s_waitcnt lgkmcnt(1)
	v_and_b32_e32 v9, 0xff, v9
	s_waitcnt lgkmcnt(0)
	v_lshlrev_b16 v5, 8, v5
	v_and_b32_e32 v7, 0xffffff00, v7
	s_delay_alu instid0(VALU_DEP_1) | instskip(SKIP_2) | instid1(VALU_DEP_1)
	v_or_b32_e32 v7, v9, v7
	ds_bpermute_b32 v9, v4, v8 offset:64
	v_lshlrev_b32_e32 v7, 16, v7
	v_and_or_b32 v7, 0xffff, v6, v7
	s_delay_alu instid0(VALU_DEP_1) | instskip(NEXT) | instid1(VALU_DEP_1)
	v_cndmask_b32_e64 v6, v6, v7, s2
	v_lshrrev_b32_e32 v7, 16, v6
	s_waitcnt lgkmcnt(0)
	v_and_b32_e32 v9, 0xff, v9
	s_delay_alu instid0(VALU_DEP_2) | instskip(NEXT) | instid1(VALU_DEP_1)
	v_and_b32_e32 v7, 0xffffff00, v7
	v_or_b32_e32 v7, v9, v7
	ds_bpermute_b32 v9, v4, v2 offset:64
	ds_bpermute_b32 v2, v4, v2 offset:96
	v_lshlrev_b32_e32 v7, 16, v7
	s_delay_alu instid0(VALU_DEP_1) | instskip(NEXT) | instid1(VALU_DEP_1)
	v_and_or_b32 v7, 0xffff, v6, v7
	v_cndmask_b32_e64 v6, v6, v7, s3
	s_delay_alu instid0(VALU_DEP_1)
	v_lshrrev_b32_e32 v7, 16, v6
	s_waitcnt lgkmcnt(1)
	v_and_b32_e32 v9, 0xff, v9
	s_waitcnt lgkmcnt(0)
	v_lshlrev_b16 v2, 8, v2
	v_and_b32_e32 v7, 0xffffff00, v7
	s_delay_alu instid0(VALU_DEP_1) | instskip(NEXT) | instid1(VALU_DEP_1)
	v_or_b32_e32 v7, v9, v7
	v_lshlrev_b32_e32 v7, 16, v7
	s_delay_alu instid0(VALU_DEP_1) | instskip(NEXT) | instid1(VALU_DEP_1)
	v_and_or_b32 v7, 0xffff, v6, v7
	v_cndmask_b32_e64 v6, v6, v7, s4
	s_delay_alu instid0(VALU_DEP_1) | instskip(NEXT) | instid1(VALU_DEP_1)
	v_lshrrev_b32_e32 v7, 16, v6
	v_and_b32_e32 v7, 0xff, v7
	s_delay_alu instid0(VALU_DEP_1) | instskip(NEXT) | instid1(VALU_DEP_1)
	v_or_b32_e32 v3, v7, v3
	v_lshlrev_b32_e32 v3, 16, v3
	s_delay_alu instid0(VALU_DEP_1) | instskip(NEXT) | instid1(VALU_DEP_1)
	v_and_or_b32 v3, 0xffff, v6, v3
	v_cndmask_b32_e64 v3, v6, v3, s5
	s_delay_alu instid0(VALU_DEP_1) | instskip(NEXT) | instid1(VALU_DEP_1)
	v_lshrrev_b32_e32 v6, 16, v3
	v_and_b32_e32 v6, 0xff, v6
	s_delay_alu instid0(VALU_DEP_1) | instskip(SKIP_2) | instid1(VALU_DEP_1)
	v_or_b32_e32 v5, v6, v5
	ds_bpermute_b32 v6, v4, v8 offset:96
	v_lshlrev_b32_e32 v5, 16, v5
	v_and_or_b32 v5, 0xffff, v3, v5
	s_delay_alu instid0(VALU_DEP_1) | instskip(SKIP_1) | instid1(VALU_DEP_1)
	v_cndmask_b32_e64 v3, v3, v5, s2
	s_load_b32 s2, s[0:1], 0x1c
	v_lshrrev_b32_e32 v5, 16, v3
	s_waitcnt lgkmcnt(0)
	v_lshlrev_b16 v6, 8, v6
	s_delay_alu instid0(VALU_DEP_2) | instskip(NEXT) | instid1(VALU_DEP_1)
	v_and_b32_e32 v5, 0xff, v5
	v_or_b32_e32 v5, v5, v6
	s_delay_alu instid0(VALU_DEP_1) | instskip(NEXT) | instid1(VALU_DEP_1)
	v_lshlrev_b32_e32 v4, 16, v5
	v_and_or_b32 v4, 0xffff, v3, v4
	s_delay_alu instid0(VALU_DEP_1) | instskip(NEXT) | instid1(VALU_DEP_1)
	v_cndmask_b32_e64 v3, v3, v4, s3
	v_lshrrev_b32_e32 v4, 16, v3
	s_delay_alu instid0(VALU_DEP_1) | instskip(NEXT) | instid1(VALU_DEP_1)
	v_and_b32_e32 v4, 0xff, v4
	v_or_b32_e32 v2, v4, v2
	s_delay_alu instid0(VALU_DEP_1) | instskip(NEXT) | instid1(VALU_DEP_1)
	v_lshlrev_b32_e32 v2, 16, v2
	v_and_or_b32 v2, 0xffff, v3, v2
	s_delay_alu instid0(VALU_DEP_1) | instskip(NEXT) | instid1(VALU_DEP_1)
	v_cndmask_b32_e64 v12, v3, v2, s4
	v_and_b32_e32 v2, 1, v12
	v_lshlrev_b32_e32 v3, 30, v12
	v_lshlrev_b32_e32 v4, 29, v12
	;; [unrolled: 1-line block ×4, first 2 shown]
	v_add_co_u32 v2, s0, v2, -1
	s_delay_alu instid0(VALU_DEP_1)
	v_cndmask_b32_e64 v6, 0, 1, s0
	v_not_b32_e32 v13, v3
	v_cmp_gt_i32_e64 s1, 0, v3
	v_not_b32_e32 v3, v4
	v_lshlrev_b32_e32 v8, 26, v12
	v_cmp_ne_u32_e64 s0, 0, v6
	v_ashrrev_i32_e32 v13, 31, v13
	v_lshlrev_b32_e32 v9, 25, v12
	v_ashrrev_i32_e32 v3, 31, v3
	v_lshlrev_b32_e32 v6, 24, v12
	v_xor_b32_e32 v2, s0, v2
	v_cmp_gt_i32_e64 s0, 0, v4
	v_not_b32_e32 v4, v5
	v_xor_b32_e32 v13, s1, v13
	v_cmp_gt_i32_e64 s1, 0, v5
	v_and_b32_e32 v2, exec_lo, v2
	v_not_b32_e32 v5, v7
	v_ashrrev_i32_e32 v4, 31, v4
	v_xor_b32_e32 v3, s0, v3
	v_cmp_gt_i32_e64 s0, 0, v7
	v_and_b32_e32 v2, v2, v13
	v_not_b32_e32 v7, v8
	v_ashrrev_i32_e32 v5, 31, v5
	v_xor_b32_e32 v4, s1, v4
	v_cmp_gt_i32_e64 s1, 0, v8
	v_and_b32_e32 v2, v2, v3
	;; [unrolled: 5-line block ×3, first 2 shown]
	v_not_b32_e32 v4, v6
	v_ashrrev_i32_e32 v3, 31, v3
	v_xor_b32_e32 v7, s1, v7
	v_cmp_gt_i32_e64 s1, 0, v6
	v_mov_b32_e32 v6, 0
	v_and_b32_e32 v2, v2, v5
	v_ashrrev_i32_e32 v4, 31, v4
	v_xor_b32_e32 v3, s0, v3
	v_bfe_u32 v5, v0, 10, 10
	v_bfe_u32 v0, v0, 20, 10
	v_and_b32_e32 v2, v2, v7
	s_lshr_b32 s0, s2, 16
	v_xor_b32_e32 v4, s1, v4
	v_lshlrev_b32_e32 v13, 5, v1
	v_mad_u32_u24 v0, v0, s0, v5
	v_and_b32_e32 v2, v2, v3
	s_and_b32 s0, s2, 0xffff
	ds_store_2addr_b32 v13, v6, v6 offset0:16 offset1:17
	ds_store_2addr_b32 v13, v6, v6 offset0:18 offset1:19
	ds_store_2addr_b32 v13, v6, v6 offset0:20 offset1:21
	ds_store_2addr_b32 v13, v6, v6 offset0:22 offset1:23
	s_waitcnt lgkmcnt(0)
	v_and_b32_e32 v3, v2, v4
	v_mad_u64_u32 v[4:5], null, v0, s0, v[1:2]
	v_and_b32_e32 v5, 0xff, v12
	s_barrier
	s_delay_alu instid0(VALU_DEP_3)
	v_mbcnt_lo_u32_b32 v0, v3, 0
	v_cmp_ne_u32_e64 s1, 0, v3
	buffer_gl0_inv
	v_lshrrev_b32_e32 v2, 5, v4
	v_lshlrev_b32_e32 v4, 4, v5
	v_cmp_eq_u32_e64 s0, 0, v0
	; wave barrier
	s_delay_alu instid0(VALU_DEP_2) | instskip(NEXT) | instid1(VALU_DEP_2)
	v_add_lshl_u32 v14, v4, v2, 2
	s_and_b32 s1, s0, s1
	s_delay_alu instid0(SALU_CYCLE_1)
	s_and_saveexec_b32 s0, s1
	s_cbranch_execz .LBB6_4
; %bb.3:
	v_bcnt_u32_b32 v3, v3, 0
	ds_store_b32 v14, v3 offset:64
.LBB6_4:
	s_or_b32 exec_lo, exec_lo, s0
	v_bfe_u32 v3, v12, 8, 1
	v_lshrrev_b32_e32 v15, 8, v12
	; wave barrier
	s_delay_alu instid0(VALU_DEP_2) | instskip(NEXT) | instid1(VALU_DEP_1)
	v_add_co_u32 v3, s0, v3, -1
	v_cndmask_b32_e64 v4, 0, 1, s0
	s_delay_alu instid0(VALU_DEP_3)
	v_lshlrev_b32_e32 v5, 30, v15
	v_lshlrev_b32_e32 v6, 29, v15
	;; [unrolled: 1-line block ×4, first 2 shown]
	v_cmp_ne_u32_e64 s0, 0, v4
	v_not_b32_e32 v4, v5
	v_cmp_gt_i32_e64 s1, 0, v5
	v_not_b32_e32 v5, v6
	v_lshlrev_b32_e32 v9, 26, v15
	v_xor_b32_e32 v3, s0, v3
	v_ashrrev_i32_e32 v4, 31, v4
	v_cmp_gt_i32_e64 s0, 0, v6
	v_not_b32_e32 v6, v7
	v_ashrrev_i32_e32 v5, 31, v5
	v_and_b32_e32 v3, exec_lo, v3
	v_xor_b32_e32 v4, s1, v4
	v_cmp_gt_i32_e64 s1, 0, v7
	v_not_b32_e32 v7, v8
	v_ashrrev_i32_e32 v6, 31, v6
	v_xor_b32_e32 v5, s0, v5
	v_and_b32_e32 v3, v3, v4
	v_cmp_gt_i32_e64 s0, 0, v8
	v_not_b32_e32 v4, v9
	v_ashrrev_i32_e32 v7, 31, v7
	v_xor_b32_e32 v6, s1, v6
	v_and_b32_e32 v3, v3, v5
	v_lshlrev_b32_e32 v5, 25, v15
	v_cmp_gt_i32_e64 s1, 0, v9
	v_ashrrev_i32_e32 v4, 31, v4
	v_xor_b32_e32 v7, s0, v7
	v_and_b32_e32 v3, v3, v6
	v_not_b32_e32 v8, v5
	v_lshlrev_b32_e32 v9, 24, v15
	v_lshrrev_b32_e32 v6, 4, v12
	v_xor_b32_e32 v4, s1, v4
	v_and_b32_e32 v3, v3, v7
	v_cmp_gt_i32_e64 s0, 0, v5
	v_ashrrev_i32_e32 v5, 31, v8
	v_not_b32_e32 v7, v9
	v_and_b32_e32 v6, 0xff0, v6
	v_and_b32_e32 v3, v3, v4
	s_delay_alu instid0(VALU_DEP_4) | instskip(SKIP_3) | instid1(VALU_DEP_4)
	v_xor_b32_e32 v4, s0, v5
	v_cmp_gt_i32_e64 s0, 0, v9
	v_ashrrev_i32_e32 v5, 31, v7
	v_add_lshl_u32 v17, v6, v2, 2
	v_and_b32_e32 v3, v3, v4
	s_delay_alu instid0(VALU_DEP_3) | instskip(SKIP_2) | instid1(VALU_DEP_1)
	v_xor_b32_e32 v4, s0, v5
	ds_load_b32 v16, v17 offset:64
	; wave barrier
	v_and_b32_e32 v3, v3, v4
	v_mbcnt_lo_u32_b32 v18, v3, 0
	v_cmp_ne_u32_e64 s1, 0, v3
	s_delay_alu instid0(VALU_DEP_2) | instskip(NEXT) | instid1(VALU_DEP_1)
	v_cmp_eq_u32_e64 s0, 0, v18
	s_and_b32 s1, s1, s0
	s_delay_alu instid0(SALU_CYCLE_1)
	s_and_saveexec_b32 s0, s1
	s_cbranch_execz .LBB6_6
; %bb.5:
	s_waitcnt lgkmcnt(0)
	v_bcnt_u32_b32 v3, v3, v16
	ds_store_b32 v17, v3 offset:64
.LBB6_6:
	s_or_b32 exec_lo, exec_lo, s0
	v_bfe_u32 v3, v12, 16, 1
	v_lshrrev_b32_e32 v19, 16, v12
	; wave barrier
	s_delay_alu instid0(VALU_DEP_2) | instskip(NEXT) | instid1(VALU_DEP_1)
	v_add_co_u32 v3, s0, v3, -1
	v_cndmask_b32_e64 v4, 0, 1, s0
	s_delay_alu instid0(VALU_DEP_3)
	v_lshlrev_b32_e32 v5, 30, v19
	v_lshlrev_b32_e32 v6, 29, v19
	;; [unrolled: 1-line block ×4, first 2 shown]
	v_cmp_ne_u32_e64 s0, 0, v4
	v_not_b32_e32 v4, v5
	v_cmp_gt_i32_e64 s1, 0, v5
	v_not_b32_e32 v5, v6
	v_lshlrev_b32_e32 v9, 26, v19
	v_xor_b32_e32 v3, s0, v3
	v_ashrrev_i32_e32 v4, 31, v4
	v_cmp_gt_i32_e64 s0, 0, v6
	v_not_b32_e32 v6, v7
	v_ashrrev_i32_e32 v5, 31, v5
	v_and_b32_e32 v3, exec_lo, v3
	v_xor_b32_e32 v4, s1, v4
	v_cmp_gt_i32_e64 s1, 0, v7
	v_not_b32_e32 v7, v8
	v_ashrrev_i32_e32 v6, 31, v6
	v_xor_b32_e32 v5, s0, v5
	v_and_b32_e32 v3, v3, v4
	v_cmp_gt_i32_e64 s0, 0, v8
	v_not_b32_e32 v4, v9
	v_ashrrev_i32_e32 v7, 31, v7
	v_xor_b32_e32 v6, s1, v6
	v_and_b32_e32 v3, v3, v5
	v_lshlrev_b32_e32 v5, 25, v19
	v_cmp_gt_i32_e64 s1, 0, v9
	v_ashrrev_i32_e32 v4, 31, v4
	v_xor_b32_e32 v7, s0, v7
	v_and_b32_e32 v3, v3, v6
	v_not_b32_e32 v8, v5
	v_lshlrev_b32_e32 v9, 24, v19
	v_lshrrev_b32_e32 v6, 12, v12
	v_xor_b32_e32 v4, s1, v4
	v_and_b32_e32 v3, v3, v7
	v_cmp_gt_i32_e64 s0, 0, v5
	v_ashrrev_i32_e32 v5, 31, v8
	v_not_b32_e32 v7, v9
	v_and_b32_e32 v6, 0xff0, v6
	v_and_b32_e32 v3, v3, v4
	s_delay_alu instid0(VALU_DEP_4) | instskip(SKIP_3) | instid1(VALU_DEP_4)
	v_xor_b32_e32 v4, s0, v5
	v_cmp_gt_i32_e64 s0, 0, v9
	v_ashrrev_i32_e32 v5, 31, v7
	v_add_lshl_u32 v21, v6, v2, 2
	v_and_b32_e32 v3, v3, v4
	s_delay_alu instid0(VALU_DEP_3) | instskip(SKIP_2) | instid1(VALU_DEP_1)
	v_xor_b32_e32 v4, s0, v5
	ds_load_b32 v20, v21 offset:64
	; wave barrier
	v_and_b32_e32 v3, v3, v4
	v_mbcnt_lo_u32_b32 v22, v3, 0
	v_cmp_ne_u32_e64 s1, 0, v3
	s_delay_alu instid0(VALU_DEP_2) | instskip(NEXT) | instid1(VALU_DEP_1)
	v_cmp_eq_u32_e64 s0, 0, v22
	s_and_b32 s1, s1, s0
	s_delay_alu instid0(SALU_CYCLE_1)
	s_and_saveexec_b32 s0, s1
	s_cbranch_execz .LBB6_8
; %bb.7:
	s_waitcnt lgkmcnt(0)
	v_bcnt_u32_b32 v3, v3, v20
	ds_store_b32 v21, v3 offset:64
.LBB6_8:
	s_or_b32 exec_lo, exec_lo, s0
	v_bfe_u32 v3, v12, 24, 1
	v_lshrrev_b32_e32 v23, 24, v12
	; wave barrier
	v_add_nc_u32_e32 v27, 64, v13
	s_delay_alu instid0(VALU_DEP_3) | instskip(NEXT) | instid1(VALU_DEP_1)
	v_add_co_u32 v3, s0, v3, -1
	v_cndmask_b32_e64 v4, 0, 1, s0
	s_delay_alu instid0(VALU_DEP_4)
	v_lshlrev_b32_e32 v5, 30, v23
	v_lshlrev_b32_e32 v6, 29, v23
	;; [unrolled: 1-line block ×4, first 2 shown]
	v_cmp_ne_u32_e64 s0, 0, v4
	v_not_b32_e32 v4, v5
	v_cmp_gt_i32_e64 s1, 0, v5
	v_not_b32_e32 v5, v6
	v_lshlrev_b32_e32 v9, 26, v23
	v_xor_b32_e32 v3, s0, v3
	v_ashrrev_i32_e32 v4, 31, v4
	v_cmp_gt_i32_e64 s0, 0, v6
	v_not_b32_e32 v6, v7
	v_ashrrev_i32_e32 v5, 31, v5
	v_and_b32_e32 v3, exec_lo, v3
	v_xor_b32_e32 v4, s1, v4
	v_cmp_gt_i32_e64 s1, 0, v7
	v_not_b32_e32 v7, v8
	v_ashrrev_i32_e32 v6, 31, v6
	v_xor_b32_e32 v5, s0, v5
	v_and_b32_e32 v3, v3, v4
	v_lshlrev_b32_e32 v4, 25, v23
	v_cmp_gt_i32_e64 s0, 0, v8
	v_ashrrev_i32_e32 v7, 31, v7
	v_xor_b32_e32 v6, s1, v6
	v_and_b32_e32 v3, v3, v5
	v_not_b32_e32 v8, v9
	v_not_b32_e32 v24, v4
	v_xor_b32_e32 v7, s0, v7
	v_cmp_gt_i32_e64 s0, 0, v9
	v_and_b32_e32 v3, v3, v6
	v_ashrrev_i32_e32 v6, 31, v8
	v_and_b32_e32 v5, 0xff000000, v12
	v_cmp_gt_i32_e64 s1, 0, v4
	v_ashrrev_i32_e32 v4, 31, v24
	v_and_b32_e32 v3, v3, v7
	v_not_b32_e32 v7, v12
	v_xor_b32_e32 v6, s0, v6
	v_lshlrev_b32_e32 v8, 4, v23
	v_xor_b32_e32 v4, s1, v4
	v_cmp_gt_i32_e64 s0, 0, v5
	v_ashrrev_i32_e32 v5, 31, v7
	v_and_b32_e32 v3, v3, v6
	v_add_lshl_u32 v25, v8, v2, 2
	s_delay_alu instid0(VALU_DEP_3) | instskip(NEXT) | instid1(VALU_DEP_3)
	v_xor_b32_e32 v2, s0, v5
	v_and_b32_e32 v3, v3, v4
	ds_load_b32 v24, v25 offset:64
	; wave barrier
	v_and_b32_e32 v2, v3, v2
	s_delay_alu instid0(VALU_DEP_1) | instskip(SKIP_1) | instid1(VALU_DEP_2)
	v_mbcnt_lo_u32_b32 v26, v2, 0
	v_cmp_ne_u32_e64 s1, 0, v2
	v_cmp_eq_u32_e64 s0, 0, v26
	s_delay_alu instid0(VALU_DEP_1) | instskip(NEXT) | instid1(SALU_CYCLE_1)
	s_and_b32 s1, s1, s0
	s_and_saveexec_b32 s0, s1
	s_cbranch_execz .LBB6_10
; %bb.9:
	s_waitcnt lgkmcnt(0)
	v_bcnt_u32_b32 v2, v2, v24
	ds_store_b32 v25, v2 offset:64
.LBB6_10:
	s_or_b32 exec_lo, exec_lo, s0
	; wave barrier
	s_waitcnt lgkmcnt(0)
	s_barrier
	buffer_gl0_inv
	ds_load_2addr_b32 v[8:9], v13 offset0:16 offset1:17
	ds_load_2addr_b32 v[6:7], v27 offset0:2 offset1:3
	;; [unrolled: 1-line block ×4, first 2 shown]
	v_bfe_i32 v30, v11, 4, 1
	s_mov_b32 s5, exec_lo
	s_waitcnt lgkmcnt(3)
	v_add_nc_u32_e32 v28, v9, v8
	s_waitcnt lgkmcnt(2)
	s_delay_alu instid0(VALU_DEP_1) | instskip(SKIP_1) | instid1(VALU_DEP_1)
	v_add3_u32 v28, v28, v6, v7
	s_waitcnt lgkmcnt(1)
	v_add3_u32 v28, v28, v2, v3
	s_waitcnt lgkmcnt(0)
	s_delay_alu instid0(VALU_DEP_1) | instskip(SKIP_1) | instid1(VALU_DEP_2)
	v_add3_u32 v5, v28, v4, v5
	v_and_b32_e32 v28, 15, v11
	v_mov_b32_dpp v29, v5 row_shr:1 row_mask:0xf bank_mask:0xf
	s_delay_alu instid0(VALU_DEP_2) | instskip(SKIP_3) | instid1(VALU_DEP_4)
	v_cmp_eq_u32_e64 s0, 0, v28
	v_cmp_lt_u32_e64 s1, 1, v28
	v_cmp_lt_u32_e64 s2, 3, v28
	;; [unrolled: 1-line block ×3, first 2 shown]
	v_cndmask_b32_e64 v29, v29, 0, s0
	s_delay_alu instid0(VALU_DEP_1) | instskip(NEXT) | instid1(VALU_DEP_1)
	v_add_nc_u32_e32 v5, v29, v5
	v_mov_b32_dpp v29, v5 row_shr:2 row_mask:0xf bank_mask:0xf
	s_delay_alu instid0(VALU_DEP_1) | instskip(NEXT) | instid1(VALU_DEP_1)
	v_cndmask_b32_e64 v29, 0, v29, s1
	v_add_nc_u32_e32 v5, v5, v29
	s_delay_alu instid0(VALU_DEP_1) | instskip(NEXT) | instid1(VALU_DEP_1)
	v_mov_b32_dpp v29, v5 row_shr:4 row_mask:0xf bank_mask:0xf
	v_cndmask_b32_e64 v29, 0, v29, s2
	s_delay_alu instid0(VALU_DEP_1) | instskip(NEXT) | instid1(VALU_DEP_1)
	v_add_nc_u32_e32 v5, v5, v29
	v_mov_b32_dpp v29, v5 row_shr:8 row_mask:0xf bank_mask:0xf
	s_delay_alu instid0(VALU_DEP_1) | instskip(SKIP_1) | instid1(VALU_DEP_2)
	v_cndmask_b32_e64 v28, 0, v29, s3
	v_and_b32_e32 v29, 0x3e0, v1
	v_add_nc_u32_e32 v5, v5, v28
	s_delay_alu instid0(VALU_DEP_2)
	v_min_u32_e32 v29, 0x1e0, v29
	ds_swizzle_b32 v28, v5 offset:swizzle(BROADCAST,32,15)
	v_or_b32_e32 v29, 31, v29
	s_waitcnt lgkmcnt(0)
	v_and_b32_e32 v30, v30, v28
	v_lshrrev_b32_e32 v28, 5, v1
	s_delay_alu instid0(VALU_DEP_2)
	v_add_nc_u32_e32 v5, v5, v30
	v_cmpx_eq_u32_e64 v29, v1
	s_cbranch_execz .LBB6_12
; %bb.11:
	s_delay_alu instid0(VALU_DEP_3)
	v_lshlrev_b32_e32 v29, 2, v28
	ds_store_b32 v29, v5
.LBB6_12:
	s_or_b32 exec_lo, exec_lo, s5
	s_delay_alu instid0(SALU_CYCLE_1)
	s_mov_b32 s5, exec_lo
	s_waitcnt lgkmcnt(0)
	s_barrier
	buffer_gl0_inv
	v_cmpx_gt_u32_e32 16, v1
	s_cbranch_execz .LBB6_14
; %bb.13:
	ds_load_b32 v29, v10
	s_waitcnt lgkmcnt(0)
	v_mov_b32_dpp v30, v29 row_shr:1 row_mask:0xf bank_mask:0xf
	s_delay_alu instid0(VALU_DEP_1) | instskip(NEXT) | instid1(VALU_DEP_1)
	v_cndmask_b32_e64 v30, v30, 0, s0
	v_add_nc_u32_e32 v29, v30, v29
	s_delay_alu instid0(VALU_DEP_1) | instskip(NEXT) | instid1(VALU_DEP_1)
	v_mov_b32_dpp v30, v29 row_shr:2 row_mask:0xf bank_mask:0xf
	v_cndmask_b32_e64 v30, 0, v30, s1
	s_delay_alu instid0(VALU_DEP_1) | instskip(NEXT) | instid1(VALU_DEP_1)
	v_add_nc_u32_e32 v29, v29, v30
	v_mov_b32_dpp v30, v29 row_shr:4 row_mask:0xf bank_mask:0xf
	s_delay_alu instid0(VALU_DEP_1) | instskip(NEXT) | instid1(VALU_DEP_1)
	v_cndmask_b32_e64 v30, 0, v30, s2
	v_add_nc_u32_e32 v29, v29, v30
	s_delay_alu instid0(VALU_DEP_1) | instskip(NEXT) | instid1(VALU_DEP_1)
	v_mov_b32_dpp v30, v29 row_shr:8 row_mask:0xf bank_mask:0xf
	v_cndmask_b32_e64 v30, 0, v30, s3
	s_delay_alu instid0(VALU_DEP_1)
	v_add_nc_u32_e32 v29, v29, v30
	ds_store_b32 v10, v29
.LBB6_14:
	s_or_b32 exec_lo, exec_lo, s5
	v_mov_b32_e32 v29, 0
	s_mov_b32 s1, exec_lo
	s_waitcnt lgkmcnt(0)
	s_barrier
	buffer_gl0_inv
	v_cmpx_lt_u32_e32 31, v1
	s_cbranch_execz .LBB6_16
; %bb.15:
	v_lshl_add_u32 v28, v28, 2, -4
	ds_load_b32 v29, v28
.LBB6_16:
	s_or_b32 exec_lo, exec_lo, s1
	v_add_nc_u32_e32 v28, -1, v11
	s_waitcnt lgkmcnt(0)
	v_add_nc_u32_e32 v5, v29, v5
	v_cmp_ne_u32_e64 s1, 0, v1
	s_delay_alu instid0(VALU_DEP_3) | instskip(NEXT) | instid1(VALU_DEP_1)
	v_cmp_gt_i32_e64 s0, 0, v28
	v_cndmask_b32_e64 v28, v28, v11, s0
	v_cmp_eq_u32_e64 s0, 0, v11
	s_delay_alu instid0(VALU_DEP_2) | instskip(SKIP_4) | instid1(VALU_DEP_1)
	v_lshlrev_b32_e32 v28, 2, v28
	ds_bpermute_b32 v5, v28, v5
	s_waitcnt lgkmcnt(0)
	v_cndmask_b32_e64 v5, v5, v29, s0
	v_cmp_eq_u32_e64 s0, 0, v1
	v_cndmask_b32_e64 v5, v5, 0, s0
	s_delay_alu instid0(VALU_DEP_1) | instskip(NEXT) | instid1(VALU_DEP_1)
	v_add_nc_u32_e32 v8, v5, v8
	v_add_nc_u32_e32 v9, v8, v9
	s_delay_alu instid0(VALU_DEP_1) | instskip(NEXT) | instid1(VALU_DEP_1)
	v_add_nc_u32_e32 v6, v9, v6
	v_add_nc_u32_e32 v7, v6, v7
	;; [unrolled: 3-line block ×3, first 2 shown]
	s_delay_alu instid0(VALU_DEP_1)
	v_add_nc_u32_e32 v4, v3, v4
	ds_store_2addr_b32 v13, v5, v8 offset0:16 offset1:17
	ds_store_2addr_b32 v27, v9, v6 offset0:2 offset1:3
	;; [unrolled: 1-line block ×4, first 2 shown]
	s_waitcnt lgkmcnt(0)
	s_barrier
	buffer_gl0_inv
	ds_load_b32 v2, v14 offset:64
	ds_load_b32 v3, v17 offset:64
	;; [unrolled: 1-line block ×4, first 2 shown]
	s_waitcnt lgkmcnt(0)
	s_barrier
	buffer_gl0_inv
	v_add_nc_u32_e32 v0, v2, v0
	v_add3_u32 v2, v18, v16, v3
	v_add3_u32 v3, v22, v20, v4
	;; [unrolled: 1-line block ×3, first 2 shown]
	ds_store_b8 v0, v12
	ds_store_b8 v2, v15
	ds_store_b8 v3, v19
	ds_store_b8 v4, v23
	s_waitcnt lgkmcnt(0)
	s_barrier
	buffer_gl0_inv
	ds_load_u8 v0, v10
	ds_load_u8 v2, v10 offset:1
	ds_load_u8 v3, v10 offset:2
	;; [unrolled: 1-line block ×3, first 2 shown]
	s_waitcnt lgkmcnt(0)
	s_barrier
	buffer_gl0_inv
	s_and_saveexec_b32 s2, vcc_lo
	s_cbranch_execz .LBB6_18
; %bb.17:
	v_mov_b32_e32 v5, 0x800
	ds_store_2addr_stride64_b32 v10, v5, v5 offset0:4 offset1:12
.LBB6_18:
	s_or_b32 exec_lo, exec_lo, s2
	v_and_b32_e32 v5, 0xff, v4
	v_and_b32_e32 v3, 0xff, v3
	s_mov_b32 s3, exec_lo
	s_waitcnt lgkmcnt(0)
	s_barrier
	buffer_gl0_inv
	ds_store_b8 v1, v4
	v_cmpx_ne_u16_e64 v3, v5
	s_cbranch_execz .LBB6_20
; %bb.19:
	v_or_b32_e32 v4, 3, v10
	v_lshlrev_b32_e32 v5, 2, v5
	v_lshlrev_b32_e32 v6, 2, v3
	ds_store_b32 v5, v4 offset:1024
	ds_store_b32 v6, v4 offset:3072
.LBB6_20:
	s_or_b32 exec_lo, exec_lo, s3
	v_and_b32_e32 v2, 0xff, v2
	s_mov_b32 s3, exec_lo
	s_delay_alu instid0(VALU_DEP_1)
	v_cmpx_ne_u16_e64 v2, v3
	s_cbranch_execz .LBB6_22
; %bb.21:
	v_or_b32_e32 v4, 2, v10
	v_lshlrev_b32_e32 v3, 2, v3
	v_lshlrev_b32_e32 v5, 2, v2
	ds_store_b32 v3, v4 offset:1024
	ds_store_b32 v5, v4 offset:3072
.LBB6_22:
	s_or_b32 exec_lo, exec_lo, s3
	v_and_b32_e32 v0, 0xff, v0
	s_mov_b32 s3, exec_lo
	s_delay_alu instid0(VALU_DEP_1)
	v_cmpx_ne_u16_e64 v0, v2
	s_cbranch_execz .LBB6_24
; %bb.23:
	v_or_b32_e32 v3, 1, v10
	v_lshlrev_b32_e32 v2, 2, v2
	v_lshlrev_b32_e32 v4, 2, v0
	ds_store_b32 v2, v3 offset:1024
	ds_store_b32 v4, v3 offset:3072
.LBB6_24:
	s_or_b32 exec_lo, exec_lo, s3
	s_waitcnt lgkmcnt(0)
	s_barrier
	buffer_gl0_inv
	s_and_saveexec_b32 s2, s1
	s_cbranch_execz .LBB6_27
; %bb.25:
	v_add_nc_u32_e32 v2, -1, v1
	ds_load_u8 v2, v2
	s_waitcnt lgkmcnt(0)
	v_cmp_ne_u16_e64 s1, v2, v0
	s_delay_alu instid0(VALU_DEP_1)
	s_and_b32 exec_lo, exec_lo, s1
	s_cbranch_execz .LBB6_27
; %bb.26:
	v_and_b32_e32 v2, 0xffff, v2
	v_lshlrev_b32_e32 v3, 2, v0
	s_delay_alu instid0(VALU_DEP_2)
	v_lshlrev_b32_e32 v2, 2, v2
	ds_store_b32 v3, v10 offset:1024
	ds_store_b32 v2, v10 offset:3072
.LBB6_27:
	s_or_b32 exec_lo, exec_lo, s2
	s_waitcnt lgkmcnt(0)
	s_barrier
	buffer_gl0_inv
	s_and_saveexec_b32 s1, s0
	s_cbranch_execz .LBB6_29
; %bb.28:
	v_lshlrev_b32_e32 v0, 2, v0
	v_mov_b32_e32 v2, 0
	ds_store_b32 v0, v2 offset:1024
.LBB6_29:
	s_or_b32 exec_lo, exec_lo, s1
	s_waitcnt lgkmcnt(0)
	s_barrier
	buffer_gl0_inv
	s_and_saveexec_b32 s0, vcc_lo
	s_cbranch_execz .LBB6_31
; %bb.30:
	ds_load_2addr_stride64_b32 v[2:3], v10 offset0:4 offset1:12
	ds_load_u8 v0, v1 offset:16448
	s_waitcnt lgkmcnt(1)
	v_sub_nc_u32_e32 v2, v3, v2
	s_waitcnt lgkmcnt(0)
	s_delay_alu instid0(VALU_DEP_1)
	v_add_nc_u16 v0, v0, v2
	ds_store_b8 v1, v0 offset:16448
.LBB6_31:
	s_or_b32 exec_lo, exec_lo, s0
	s_waitcnt lgkmcnt(0)
	s_barrier
	buffer_gl0_inv
	s_and_saveexec_b32 s0, vcc_lo
	s_cbranch_execz .LBB6_33
; %bb.32:
	ds_load_u8 v0, v1 offset:16448
	v_lshl_or_b32 v1, s15, 9, v1
	s_waitcnt lgkmcnt(0)
	global_store_b8 v1, v0, s[6:7]
.LBB6_33:
	s_nop 0
	s_sendmsg sendmsg(MSG_DEALLOC_VGPRS)
	s_endpgm
	.section	.rodata,"a",@progbits
	.p2align	6, 0x0
	.amdhsa_kernel _Z16histogram_kernelILj512ELj4ELj512ELN6hipcub23BlockHistogramAlgorithmE1EhEvPT3_S3_
		.amdhsa_group_segment_fixed_size 16960
		.amdhsa_private_segment_fixed_size 0
		.amdhsa_kernarg_size 272
		.amdhsa_user_sgpr_count 15
		.amdhsa_user_sgpr_dispatch_ptr 0
		.amdhsa_user_sgpr_queue_ptr 0
		.amdhsa_user_sgpr_kernarg_segment_ptr 1
		.amdhsa_user_sgpr_dispatch_id 0
		.amdhsa_user_sgpr_private_segment_size 0
		.amdhsa_wavefront_size32 1
		.amdhsa_uses_dynamic_stack 0
		.amdhsa_enable_private_segment 0
		.amdhsa_system_sgpr_workgroup_id_x 1
		.amdhsa_system_sgpr_workgroup_id_y 0
		.amdhsa_system_sgpr_workgroup_id_z 0
		.amdhsa_system_sgpr_workgroup_info 0
		.amdhsa_system_vgpr_workitem_id 2
		.amdhsa_next_free_vgpr 31
		.amdhsa_next_free_sgpr 16
		.amdhsa_reserve_vcc 1
		.amdhsa_float_round_mode_32 0
		.amdhsa_float_round_mode_16_64 0
		.amdhsa_float_denorm_mode_32 3
		.amdhsa_float_denorm_mode_16_64 3
		.amdhsa_dx10_clamp 1
		.amdhsa_ieee_mode 1
		.amdhsa_fp16_overflow 0
		.amdhsa_workgroup_processor_mode 1
		.amdhsa_memory_ordered 1
		.amdhsa_forward_progress 0
		.amdhsa_shared_vgpr_count 0
		.amdhsa_exception_fp_ieee_invalid_op 0
		.amdhsa_exception_fp_denorm_src 0
		.amdhsa_exception_fp_ieee_div_zero 0
		.amdhsa_exception_fp_ieee_overflow 0
		.amdhsa_exception_fp_ieee_underflow 0
		.amdhsa_exception_fp_ieee_inexact 0
		.amdhsa_exception_int_div_zero 0
	.end_amdhsa_kernel
	.section	.text._Z16histogram_kernelILj512ELj4ELj512ELN6hipcub23BlockHistogramAlgorithmE1EhEvPT3_S3_,"axG",@progbits,_Z16histogram_kernelILj512ELj4ELj512ELN6hipcub23BlockHistogramAlgorithmE1EhEvPT3_S3_,comdat
.Lfunc_end6:
	.size	_Z16histogram_kernelILj512ELj4ELj512ELN6hipcub23BlockHistogramAlgorithmE1EhEvPT3_S3_, .Lfunc_end6-_Z16histogram_kernelILj512ELj4ELj512ELN6hipcub23BlockHistogramAlgorithmE1EhEvPT3_S3_
                                        ; -- End function
	.section	.AMDGPU.csdata,"",@progbits
; Kernel info:
; codeLenInByte = 4036
; NumSgprs: 18
; NumVgprs: 31
; ScratchSize: 0
; MemoryBound: 0
; FloatMode: 240
; IeeeMode: 1
; LDSByteSize: 16960 bytes/workgroup (compile time only)
; SGPRBlocks: 2
; VGPRBlocks: 3
; NumSGPRsForWavesPerEU: 18
; NumVGPRsForWavesPerEU: 31
; Occupancy: 16
; WaveLimiterHint : 0
; COMPUTE_PGM_RSRC2:SCRATCH_EN: 0
; COMPUTE_PGM_RSRC2:USER_SGPR: 15
; COMPUTE_PGM_RSRC2:TRAP_HANDLER: 0
; COMPUTE_PGM_RSRC2:TGID_X_EN: 1
; COMPUTE_PGM_RSRC2:TGID_Y_EN: 0
; COMPUTE_PGM_RSRC2:TGID_Z_EN: 0
; COMPUTE_PGM_RSRC2:TIDIG_COMP_CNT: 2
	.section	.text._Z16histogram_kernelILj256ELj3ELj512ELN6hipcub23BlockHistogramAlgorithmE1EhEvPT3_S3_,"axG",@progbits,_Z16histogram_kernelILj256ELj3ELj512ELN6hipcub23BlockHistogramAlgorithmE1EhEvPT3_S3_,comdat
	.protected	_Z16histogram_kernelILj256ELj3ELj512ELN6hipcub23BlockHistogramAlgorithmE1EhEvPT3_S3_ ; -- Begin function _Z16histogram_kernelILj256ELj3ELj512ELN6hipcub23BlockHistogramAlgorithmE1EhEvPT3_S3_
	.globl	_Z16histogram_kernelILj256ELj3ELj512ELN6hipcub23BlockHistogramAlgorithmE1EhEvPT3_S3_
	.p2align	8
	.type	_Z16histogram_kernelILj256ELj3ELj512ELN6hipcub23BlockHistogramAlgorithmE1EhEvPT3_S3_,@function
_Z16histogram_kernelILj256ELj3ELj512ELN6hipcub23BlockHistogramAlgorithmE1EhEvPT3_S3_: ; @_Z16histogram_kernelILj256ELj3ELj512ELN6hipcub23BlockHistogramAlgorithmE1EhEvPT3_S3_
; %bb.0:
	s_load_b128 s[4:7], s[0:1], 0x0
	v_and_b32_e32 v1, 0x3ff, v0
	s_delay_alu instid0(VALU_DEP_1) | instskip(SKIP_1) | instid1(VALU_DEP_2)
	v_lshl_or_b32 v2, s15, 8, v1
	v_cmp_gt_u32_e64 s2, 0x200, v1
	v_lshl_add_u32 v2, v2, 1, v2
	s_delay_alu instid0(VALU_DEP_1)
	v_add_nc_u32_e32 v3, 1, v2
	v_add_nc_u32_e32 v4, 2, v2
	s_waitcnt lgkmcnt(0)
	s_clause 0x2
	global_load_u8 v2, v2, s[4:5]
	global_load_u8 v3, v3, s[4:5]
	;; [unrolled: 1-line block ×3, first 2 shown]
	s_and_saveexec_b32 s3, s2
	s_cbranch_execz .LBB7_2
; %bb.1:
	v_mov_b32_e32 v5, 0
	ds_store_b8 v1, v5 offset:8224
.LBB7_2:
	s_or_b32 exec_lo, exec_lo, s3
	v_cmp_gt_u32_e32 vcc_lo, 0x100, v1
	s_and_saveexec_b32 s3, vcc_lo
	s_cbranch_execz .LBB7_4
; %bb.3:
	v_mov_b32_e32 v5, 0
	ds_store_b8 v1, v5 offset:8480
.LBB7_4:
	s_or_b32 exec_lo, exec_lo, s3
	v_lshrrev_b32_e32 v14, 5, v1
	v_mbcnt_lo_u32_b32 v13, -1, 0
	s_waitcnt vmcnt(0) lgkmcnt(0)
	s_barrier
	buffer_gl0_inv
	v_mul_u32_u24_e32 v5, 0x60, v14
	s_delay_alu instid0(VALU_DEP_1)
	v_mad_u32_u24 v6, v13, 3, v5
	v_or_b32_e32 v5, v13, v5
	ds_store_b8 v6, v2
	ds_store_b8 v6, v3 offset:1
	ds_store_b8 v6, v4 offset:2
	; wave barrier
	ds_load_u8 v10, v5
	ds_load_u8 v11, v5 offset:32
	ds_load_u8 v12, v5 offset:64
	; wave barrier
	; wave barrier
	s_waitcnt lgkmcnt(0)
	s_barrier
	buffer_gl0_inv
	s_load_b32 s3, s[0:1], 0x1c
	v_and_b32_e32 v2, 1, v10
	v_lshlrev_b32_e32 v3, 30, v10
	v_lshlrev_b32_e32 v4, 29, v10
	;; [unrolled: 1-line block ×4, first 2 shown]
	v_add_co_u32 v2, s0, v2, -1
	s_delay_alu instid0(VALU_DEP_1)
	v_cndmask_b32_e64 v6, 0, 1, s0
	v_not_b32_e32 v15, v3
	v_cmp_gt_i32_e64 s1, 0, v3
	v_not_b32_e32 v3, v4
	v_lshlrev_b32_e32 v8, 26, v10
	v_cmp_ne_u32_e64 s0, 0, v6
	v_ashrrev_i32_e32 v15, 31, v15
	v_lshlrev_b32_e32 v9, 25, v10
	v_ashrrev_i32_e32 v3, 31, v3
	v_lshlrev_b32_e32 v6, 24, v10
	v_xor_b32_e32 v2, s0, v2
	v_cmp_gt_i32_e64 s0, 0, v4
	v_not_b32_e32 v4, v5
	v_xor_b32_e32 v15, s1, v15
	v_cmp_gt_i32_e64 s1, 0, v5
	v_and_b32_e32 v2, exec_lo, v2
	v_not_b32_e32 v5, v7
	v_ashrrev_i32_e32 v4, 31, v4
	v_xor_b32_e32 v3, s0, v3
	v_cmp_gt_i32_e64 s0, 0, v7
	v_and_b32_e32 v2, v2, v15
	v_not_b32_e32 v7, v8
	v_ashrrev_i32_e32 v5, 31, v5
	v_xor_b32_e32 v4, s1, v4
	v_cmp_gt_i32_e64 s1, 0, v8
	v_and_b32_e32 v2, v2, v3
	;; [unrolled: 5-line block ×3, first 2 shown]
	v_not_b32_e32 v4, v6
	v_ashrrev_i32_e32 v3, 31, v3
	v_xor_b32_e32 v7, s1, v7
	v_cmp_gt_i32_e64 s1, 0, v6
	v_mov_b32_e32 v6, 0
	v_and_b32_e32 v2, v2, v5
	v_ashrrev_i32_e32 v4, 31, v4
	v_xor_b32_e32 v3, s0, v3
	v_bfe_u32 v5, v0, 10, 10
	v_bfe_u32 v0, v0, 20, 10
	v_and_b32_e32 v2, v2, v7
	s_waitcnt lgkmcnt(0)
	s_lshr_b32 s0, s3, 16
	v_xor_b32_e32 v4, s1, v4
	v_lshlrev_b32_e32 v15, 5, v1
	v_mad_u32_u24 v0, v0, s0, v5
	v_and_b32_e32 v2, v2, v3
	s_and_b32 s0, s3, 0xffff
	ds_store_2addr_b32 v15, v6, v6 offset0:8 offset1:9
	ds_store_2addr_b32 v15, v6, v6 offset0:10 offset1:11
	;; [unrolled: 1-line block ×4, first 2 shown]
	s_waitcnt lgkmcnt(0)
	v_and_b32_e32 v3, v2, v4
	v_mad_u64_u32 v[4:5], null, v0, s0, v[1:2]
	v_and_b32_e32 v2, 0xff, v10
	s_barrier
	s_delay_alu instid0(VALU_DEP_3)
	v_mbcnt_lo_u32_b32 v0, v3, 0
	v_cmp_ne_u32_e64 s1, 0, v3
	buffer_gl0_inv
	v_lshlrev_b32_e32 v5, 3, v2
	v_lshrrev_b32_e32 v2, 5, v4
	v_cmp_eq_u32_e64 s0, 0, v0
	; wave barrier
	s_delay_alu instid0(VALU_DEP_2) | instskip(NEXT) | instid1(VALU_DEP_2)
	v_add_lshl_u32 v16, v2, v5, 2
	s_and_b32 s1, s1, s0
	s_delay_alu instid0(SALU_CYCLE_1)
	s_and_saveexec_b32 s0, s1
	s_cbranch_execz .LBB7_6
; %bb.5:
	v_bcnt_u32_b32 v3, v3, 0
	ds_store_b32 v16, v3 offset:32
.LBB7_6:
	s_or_b32 exec_lo, exec_lo, s0
	v_and_b32_e32 v3, 1, v11
	v_lshlrev_b32_e32 v5, 30, v11
	v_lshlrev_b32_e32 v7, 29, v11
	;; [unrolled: 1-line block ×4, first 2 shown]
	v_add_co_u32 v3, s0, v3, -1
	s_delay_alu instid0(VALU_DEP_1)
	v_cndmask_b32_e64 v6, 0, 1, s0
	v_not_b32_e32 v17, v5
	v_cmp_gt_i32_e64 s1, 0, v5
	v_not_b32_e32 v5, v7
	v_and_b32_e32 v4, 0xff, v11
	v_cmp_ne_u32_e64 s0, 0, v6
	v_ashrrev_i32_e32 v17, 31, v17
	v_lshlrev_b32_e32 v6, 26, v11
	v_ashrrev_i32_e32 v5, 31, v5
	v_lshlrev_b32_e32 v4, 3, v4
	v_xor_b32_e32 v3, s0, v3
	v_cmp_gt_i32_e64 s0, 0, v7
	v_not_b32_e32 v7, v8
	v_xor_b32_e32 v17, s1, v17
	v_cmp_gt_i32_e64 s1, 0, v8
	v_and_b32_e32 v3, exec_lo, v3
	v_not_b32_e32 v8, v9
	v_ashrrev_i32_e32 v7, 31, v7
	v_xor_b32_e32 v5, s0, v5
	v_cmp_gt_i32_e64 s0, 0, v9
	v_and_b32_e32 v3, v3, v17
	v_lshlrev_b32_e32 v17, 25, v11
	v_ashrrev_i32_e32 v8, 31, v8
	v_xor_b32_e32 v7, s1, v7
	v_not_b32_e32 v9, v6
	v_and_b32_e32 v3, v3, v5
	v_lshlrev_b32_e32 v5, 24, v11
	v_not_b32_e32 v18, v17
	v_xor_b32_e32 v8, s0, v8
	v_cmp_gt_i32_e64 s0, 0, v6
	v_and_b32_e32 v3, v3, v7
	v_ashrrev_i32_e32 v6, 31, v9
	v_cmp_gt_i32_e64 s1, 0, v17
	v_ashrrev_i32_e32 v7, 31, v18
	v_add_lshl_u32 v19, v2, v4, 2
	v_and_b32_e32 v3, v3, v8
	v_not_b32_e32 v8, v5
	v_xor_b32_e32 v6, s0, v6
	v_xor_b32_e32 v7, s1, v7
	v_cmp_gt_i32_e64 s0, 0, v5
	s_delay_alu instid0(VALU_DEP_4) | instskip(NEXT) | instid1(VALU_DEP_4)
	v_ashrrev_i32_e32 v5, 31, v8
	v_and_b32_e32 v3, v3, v6
	; wave barrier
	ds_load_b32 v17, v19 offset:32
	v_xor_b32_e32 v4, s0, v5
	v_and_b32_e32 v3, v3, v7
	; wave barrier
	s_delay_alu instid0(VALU_DEP_1) | instskip(NEXT) | instid1(VALU_DEP_1)
	v_and_b32_e32 v3, v3, v4
	v_mbcnt_lo_u32_b32 v18, v3, 0
	v_cmp_ne_u32_e64 s1, 0, v3
	s_delay_alu instid0(VALU_DEP_2) | instskip(NEXT) | instid1(VALU_DEP_1)
	v_cmp_eq_u32_e64 s0, 0, v18
	s_and_b32 s1, s1, s0
	s_delay_alu instid0(SALU_CYCLE_1)
	s_and_saveexec_b32 s0, s1
	s_cbranch_execz .LBB7_8
; %bb.7:
	s_waitcnt lgkmcnt(0)
	v_bcnt_u32_b32 v3, v3, v17
	ds_store_b32 v19, v3 offset:32
.LBB7_8:
	s_or_b32 exec_lo, exec_lo, s0
	v_and_b32_e32 v3, 1, v12
	v_lshlrev_b32_e32 v5, 30, v12
	v_lshlrev_b32_e32 v7, 29, v12
	;; [unrolled: 1-line block ×4, first 2 shown]
	v_add_co_u32 v3, s0, v3, -1
	s_delay_alu instid0(VALU_DEP_1)
	v_cndmask_b32_e64 v6, 0, 1, s0
	v_not_b32_e32 v20, v5
	v_cmp_gt_i32_e64 s1, 0, v5
	v_not_b32_e32 v5, v7
	v_and_b32_e32 v4, 0xff, v12
	v_cmp_ne_u32_e64 s0, 0, v6
	v_ashrrev_i32_e32 v20, 31, v20
	v_lshlrev_b32_e32 v6, 26, v12
	v_ashrrev_i32_e32 v5, 31, v5
	v_lshlrev_b32_e32 v4, 3, v4
	v_xor_b32_e32 v3, s0, v3
	v_cmp_gt_i32_e64 s0, 0, v7
	v_not_b32_e32 v7, v8
	v_xor_b32_e32 v20, s1, v20
	v_cmp_gt_i32_e64 s1, 0, v8
	v_and_b32_e32 v3, exec_lo, v3
	v_not_b32_e32 v8, v9
	v_ashrrev_i32_e32 v7, 31, v7
	v_xor_b32_e32 v5, s0, v5
	v_cmp_gt_i32_e64 s0, 0, v9
	v_and_b32_e32 v3, v3, v20
	v_lshlrev_b32_e32 v20, 25, v12
	v_ashrrev_i32_e32 v8, 31, v8
	v_xor_b32_e32 v7, s1, v7
	v_not_b32_e32 v9, v6
	v_and_b32_e32 v3, v3, v5
	v_lshlrev_b32_e32 v5, 24, v12
	v_not_b32_e32 v21, v20
	v_xor_b32_e32 v8, s0, v8
	v_cmp_gt_i32_e64 s0, 0, v6
	v_and_b32_e32 v3, v3, v7
	v_ashrrev_i32_e32 v6, 31, v9
	v_cmp_gt_i32_e64 s1, 0, v20
	v_ashrrev_i32_e32 v7, 31, v21
	v_add_lshl_u32 v22, v2, v4, 2
	v_and_b32_e32 v3, v3, v8
	v_not_b32_e32 v8, v5
	v_xor_b32_e32 v6, s0, v6
	v_xor_b32_e32 v7, s1, v7
	v_cmp_gt_i32_e64 s0, 0, v5
	s_delay_alu instid0(VALU_DEP_4) | instskip(NEXT) | instid1(VALU_DEP_4)
	v_ashrrev_i32_e32 v5, 31, v8
	v_and_b32_e32 v3, v3, v6
	; wave barrier
	ds_load_b32 v20, v22 offset:32
	v_add_nc_u32_e32 v23, 32, v15
	v_xor_b32_e32 v2, s0, v5
	v_and_b32_e32 v3, v3, v7
	; wave barrier
	s_delay_alu instid0(VALU_DEP_1) | instskip(NEXT) | instid1(VALU_DEP_1)
	v_and_b32_e32 v2, v3, v2
	v_mbcnt_lo_u32_b32 v21, v2, 0
	v_cmp_ne_u32_e64 s1, 0, v2
	s_delay_alu instid0(VALU_DEP_2) | instskip(NEXT) | instid1(VALU_DEP_1)
	v_cmp_eq_u32_e64 s0, 0, v21
	s_and_b32 s1, s1, s0
	s_delay_alu instid0(SALU_CYCLE_1)
	s_and_saveexec_b32 s0, s1
	s_cbranch_execz .LBB7_10
; %bb.9:
	s_waitcnt lgkmcnt(0)
	v_bcnt_u32_b32 v2, v2, v20
	ds_store_b32 v22, v2 offset:32
.LBB7_10:
	s_or_b32 exec_lo, exec_lo, s0
	; wave barrier
	s_waitcnt lgkmcnt(0)
	s_barrier
	buffer_gl0_inv
	ds_load_2addr_b32 v[8:9], v15 offset0:8 offset1:9
	ds_load_2addr_b32 v[6:7], v23 offset0:2 offset1:3
	ds_load_2addr_b32 v[2:3], v23 offset0:4 offset1:5
	ds_load_2addr_b32 v[4:5], v23 offset0:6 offset1:7
	v_bfe_i32 v26, v13, 4, 1
	s_mov_b32 s1, exec_lo
	s_waitcnt lgkmcnt(3)
	v_add_nc_u32_e32 v24, v9, v8
	s_waitcnt lgkmcnt(2)
	s_delay_alu instid0(VALU_DEP_1) | instskip(SKIP_1) | instid1(VALU_DEP_1)
	v_add3_u32 v24, v24, v6, v7
	s_waitcnt lgkmcnt(1)
	v_add3_u32 v24, v24, v2, v3
	s_waitcnt lgkmcnt(0)
	s_delay_alu instid0(VALU_DEP_1) | instskip(SKIP_1) | instid1(VALU_DEP_2)
	v_add3_u32 v5, v24, v4, v5
	v_and_b32_e32 v24, 15, v13
	v_mov_b32_dpp v25, v5 row_shr:1 row_mask:0xf bank_mask:0xf
	s_delay_alu instid0(VALU_DEP_2) | instskip(NEXT) | instid1(VALU_DEP_1)
	v_cmp_ne_u32_e64 s0, 0, v24
	v_cndmask_b32_e64 v25, 0, v25, s0
	v_cmp_lt_u32_e64 s0, 1, v24
	s_delay_alu instid0(VALU_DEP_2) | instskip(NEXT) | instid1(VALU_DEP_1)
	v_add_nc_u32_e32 v5, v25, v5
	v_mov_b32_dpp v25, v5 row_shr:2 row_mask:0xf bank_mask:0xf
	s_delay_alu instid0(VALU_DEP_1) | instskip(SKIP_1) | instid1(VALU_DEP_2)
	v_cndmask_b32_e64 v25, 0, v25, s0
	v_cmp_lt_u32_e64 s0, 3, v24
	v_add_nc_u32_e32 v5, v5, v25
	s_delay_alu instid0(VALU_DEP_1) | instskip(NEXT) | instid1(VALU_DEP_1)
	v_mov_b32_dpp v25, v5 row_shr:4 row_mask:0xf bank_mask:0xf
	v_cndmask_b32_e64 v25, 0, v25, s0
	v_cmp_lt_u32_e64 s0, 7, v24
	s_delay_alu instid0(VALU_DEP_2) | instskip(NEXT) | instid1(VALU_DEP_1)
	v_add_nc_u32_e32 v5, v5, v25
	v_mov_b32_dpp v25, v5 row_shr:8 row_mask:0xf bank_mask:0xf
	s_delay_alu instid0(VALU_DEP_1) | instskip(SKIP_1) | instid1(VALU_DEP_2)
	v_cndmask_b32_e64 v24, 0, v25, s0
	v_and_b32_e32 v25, 0x3e0, v1
	v_add_nc_u32_e32 v5, v5, v24
	s_delay_alu instid0(VALU_DEP_2) | instskip(SKIP_4) | instid1(VALU_DEP_1)
	v_min_u32_e32 v25, 0xe0, v25
	ds_swizzle_b32 v24, v5 offset:swizzle(BROADCAST,32,15)
	v_or_b32_e32 v25, 31, v25
	s_waitcnt lgkmcnt(0)
	v_and_b32_e32 v24, v26, v24
	v_add_nc_u32_e32 v24, v5, v24
	s_delay_alu instid0(VALU_DEP_3)
	v_cmpx_eq_u32_e64 v25, v1
	s_cbranch_execz .LBB7_12
; %bb.11:
	v_lshlrev_b32_e32 v5, 2, v14
	ds_store_b32 v5, v24
.LBB7_12:
	s_or_b32 exec_lo, exec_lo, s1
	v_lshlrev_b32_e32 v5, 2, v1
	s_mov_b32 s1, exec_lo
	s_waitcnt lgkmcnt(0)
	s_barrier
	buffer_gl0_inv
	v_cmpx_gt_u32_e32 8, v1
	s_cbranch_execz .LBB7_14
; %bb.13:
	ds_load_b32 v25, v5
	v_and_b32_e32 v26, 7, v13
	s_delay_alu instid0(VALU_DEP_1) | instskip(SKIP_2) | instid1(VALU_DEP_1)
	v_cmp_ne_u32_e64 s0, 0, v26
	s_waitcnt lgkmcnt(0)
	v_mov_b32_dpp v27, v25 row_shr:1 row_mask:0xf bank_mask:0xf
	v_cndmask_b32_e64 v27, 0, v27, s0
	v_cmp_lt_u32_e64 s0, 1, v26
	s_delay_alu instid0(VALU_DEP_2) | instskip(NEXT) | instid1(VALU_DEP_1)
	v_add_nc_u32_e32 v25, v27, v25
	v_mov_b32_dpp v27, v25 row_shr:2 row_mask:0xf bank_mask:0xf
	s_delay_alu instid0(VALU_DEP_1) | instskip(SKIP_1) | instid1(VALU_DEP_2)
	v_cndmask_b32_e64 v27, 0, v27, s0
	v_cmp_lt_u32_e64 s0, 3, v26
	v_add_nc_u32_e32 v25, v25, v27
	s_delay_alu instid0(VALU_DEP_1) | instskip(NEXT) | instid1(VALU_DEP_1)
	v_mov_b32_dpp v27, v25 row_shr:4 row_mask:0xf bank_mask:0xf
	v_cndmask_b32_e64 v26, 0, v27, s0
	s_delay_alu instid0(VALU_DEP_1)
	v_add_nc_u32_e32 v25, v25, v26
	ds_store_b32 v5, v25
.LBB7_14:
	s_or_b32 exec_lo, exec_lo, s1
	v_mov_b32_e32 v25, 0
	s_mov_b32 s1, exec_lo
	s_waitcnt lgkmcnt(0)
	s_barrier
	buffer_gl0_inv
	v_cmpx_lt_u32_e32 31, v1
	s_cbranch_execz .LBB7_16
; %bb.15:
	v_lshl_add_u32 v14, v14, 2, -4
	ds_load_b32 v25, v14
.LBB7_16:
	s_or_b32 exec_lo, exec_lo, s1
	v_add_nc_u32_e32 v14, -1, v13
	s_waitcnt lgkmcnt(0)
	v_add_nc_u32_e32 v24, v25, v24
	v_cmp_ne_u32_e64 s1, 0, v1
	s_mov_b32 s4, 0
	v_cmp_gt_i32_e64 s0, 0, v14
	s_delay_alu instid0(VALU_DEP_1) | instskip(SKIP_1) | instid1(VALU_DEP_2)
	v_cndmask_b32_e64 v14, v14, v13, s0
	v_cmp_eq_u32_e64 s0, 0, v13
	v_lshlrev_b32_e32 v14, 2, v14
	ds_bpermute_b32 v14, v14, v24
	s_waitcnt lgkmcnt(0)
	v_cndmask_b32_e64 v13, v14, v25, s0
	v_cmp_eq_u32_e64 s0, 0, v1
	s_delay_alu instid0(VALU_DEP_1) | instskip(NEXT) | instid1(VALU_DEP_1)
	v_cndmask_b32_e64 v13, v13, 0, s0
	v_add_nc_u32_e32 v8, v13, v8
	s_delay_alu instid0(VALU_DEP_1) | instskip(NEXT) | instid1(VALU_DEP_1)
	v_add_nc_u32_e32 v9, v8, v9
	v_add_nc_u32_e32 v6, v9, v6
	s_delay_alu instid0(VALU_DEP_1) | instskip(NEXT) | instid1(VALU_DEP_1)
	v_add_nc_u32_e32 v7, v6, v7
	;; [unrolled: 3-line block ×3, first 2 shown]
	v_add_nc_u32_e32 v4, v3, v4
	ds_store_2addr_b32 v15, v13, v8 offset0:8 offset1:9
	ds_store_2addr_b32 v23, v9, v6 offset0:2 offset1:3
	;; [unrolled: 1-line block ×4, first 2 shown]
	s_waitcnt lgkmcnt(0)
	s_barrier
	buffer_gl0_inv
	ds_load_b32 v3, v16 offset:32
	ds_load_b32 v4, v19 offset:32
	;; [unrolled: 1-line block ×3, first 2 shown]
	v_mul_u32_u24_e32 v2, 3, v1
	s_waitcnt lgkmcnt(0)
	s_barrier
	buffer_gl0_inv
	v_add_nc_u32_e32 v0, v3, v0
	v_add3_u32 v3, v18, v17, v4
	v_add3_u32 v4, v21, v20, v6
	ds_store_b8 v0, v10
	ds_store_b8 v3, v11
	ds_store_b8 v4, v12
	s_waitcnt lgkmcnt(0)
	s_barrier
	buffer_gl0_inv
	ds_load_u8 v0, v2
	ds_load_u8 v4, v2 offset:1
	ds_load_u8 v3, v2 offset:2
	s_waitcnt lgkmcnt(0)
	s_barrier
	buffer_gl0_inv
	s_and_saveexec_b32 s5, s2
	s_cbranch_execz .LBB7_19
; %bb.17:
	v_lshl_add_u32 v6, v1, 2, 0x200
	v_dual_mov_b32 v7, 0x300 :: v_dual_mov_b32 v8, v1
.LBB7_18:                               ; =>This Inner Loop Header: Depth=1
	s_delay_alu instid0(VALU_DEP_1) | instskip(SKIP_3) | instid1(VALU_DEP_1)
	v_add_nc_u32_e32 v8, 0x100, v8
	ds_store_2addr_stride64_b32 v6, v7, v7 offset1:8
	v_add_nc_u32_e32 v6, 0x400, v6
	v_cmp_lt_u32_e64 s3, 0x1ff, v8
	s_or_b32 s4, s3, s4
	s_delay_alu instid0(SALU_CYCLE_1)
	s_and_not1_b32 exec_lo, exec_lo, s4
	s_cbranch_execnz .LBB7_18
.LBB7_19:
	s_or_b32 exec_lo, exec_lo, s5
	v_and_b32_e32 v6, 0xff, v3
	v_and_b32_e32 v4, 0xff, v4
	s_mov_b32 s4, exec_lo
	s_waitcnt lgkmcnt(0)
	s_barrier
	buffer_gl0_inv
	ds_store_b8 v1, v3
	v_cmpx_ne_u16_e64 v4, v6
	s_cbranch_execz .LBB7_21
; %bb.20:
	v_add_nc_u32_e32 v3, 2, v2
	v_lshlrev_b32_e32 v6, 2, v6
	v_lshlrev_b32_e32 v7, 2, v4
	ds_store_b32 v6, v3 offset:512
	ds_store_b32 v7, v3 offset:2560
.LBB7_21:
	s_or_b32 exec_lo, exec_lo, s4
	v_and_b32_e32 v0, 0xff, v0
	s_mov_b32 s4, exec_lo
	s_delay_alu instid0(VALU_DEP_1)
	v_cmpx_ne_u16_e64 v0, v4
	s_cbranch_execz .LBB7_23
; %bb.22:
	v_add_nc_u32_e32 v3, 1, v2
	v_lshlrev_b32_e32 v4, 2, v4
	v_lshlrev_b32_e32 v6, 2, v0
	ds_store_b32 v4, v3 offset:512
	ds_store_b32 v6, v3 offset:2560
.LBB7_23:
	s_or_b32 exec_lo, exec_lo, s4
	s_waitcnt lgkmcnt(0)
	s_barrier
	buffer_gl0_inv
	s_and_saveexec_b32 s3, s1
	s_cbranch_execz .LBB7_26
; %bb.24:
	v_add_nc_u32_e32 v3, -1, v1
	ds_load_u8 v4, v3
	s_waitcnt lgkmcnt(0)
	v_cmp_ne_u16_e64 s1, v4, v0
	s_delay_alu instid0(VALU_DEP_1)
	s_and_b32 exec_lo, exec_lo, s1
	s_cbranch_execz .LBB7_26
; %bb.25:
	v_lshlrev_b32_e32 v4, 2, v0
	ds_store_b32 v4, v2 offset:512
	ds_load_u8 v3, v3
	s_waitcnt lgkmcnt(0)
	v_lshlrev_b32_e32 v3, 2, v3
	ds_store_b32 v3, v2 offset:2560
.LBB7_26:
	s_or_b32 exec_lo, exec_lo, s3
	s_waitcnt lgkmcnt(0)
	s_barrier
	buffer_gl0_inv
	s_and_saveexec_b32 s1, s0
	s_cbranch_execz .LBB7_28
; %bb.27:
	v_lshlrev_b32_e32 v0, 2, v0
	v_mov_b32_e32 v2, 0
	ds_store_b32 v0, v2 offset:512
.LBB7_28:
	s_or_b32 exec_lo, exec_lo, s1
	s_waitcnt lgkmcnt(0)
	s_barrier
	buffer_gl0_inv
	s_and_saveexec_b32 s0, s2
	s_cbranch_execz .LBB7_30
; %bb.29:
	ds_load_2addr_stride64_b32 v[2:3], v5 offset0:2 offset1:10
	ds_load_u8 v0, v1 offset:8224
	s_waitcnt lgkmcnt(1)
	v_sub_nc_u32_e32 v2, v3, v2
	s_waitcnt lgkmcnt(0)
	s_delay_alu instid0(VALU_DEP_1)
	v_add_nc_u16 v0, v0, v2
	ds_store_b8 v1, v0 offset:8224
.LBB7_30:
	s_or_b32 exec_lo, exec_lo, s0
	s_and_saveexec_b32 s0, vcc_lo
	s_cbranch_execz .LBB7_32
; %bb.31:
	ds_load_2addr_stride64_b32 v[2:3], v5 offset0:6 offset1:14
	ds_load_u8 v0, v1 offset:8480
	s_waitcnt lgkmcnt(1)
	v_sub_nc_u32_e32 v2, v3, v2
	s_waitcnt lgkmcnt(0)
	s_delay_alu instid0(VALU_DEP_1)
	v_add_nc_u16 v0, v0, v2
	ds_store_b8 v1, v0 offset:8480
.LBB7_32:
	s_or_b32 exec_lo, exec_lo, s0
	s_lshl_b32 s0, s15, 9
	s_waitcnt lgkmcnt(0)
	v_mov_b32_e32 v0, s0
	s_barrier
	buffer_gl0_inv
	s_and_saveexec_b32 s1, s2
	s_cbranch_execnz .LBB7_35
; %bb.33:
	s_or_b32 exec_lo, exec_lo, s1
	s_and_saveexec_b32 s0, vcc_lo
	s_cbranch_execnz .LBB7_36
.LBB7_34:
	s_nop 0
	s_sendmsg sendmsg(MSG_DEALLOC_VGPRS)
	s_endpgm
.LBB7_35:
	ds_load_u8 v2, v1 offset:8224
	s_or_b32 s2, s0, 0x100
	v_or_b32_e32 v3, s0, v1
	v_mov_b32_e32 v0, s2
	s_waitcnt lgkmcnt(0)
	global_store_b8 v3, v2, s[6:7]
	s_or_b32 exec_lo, exec_lo, s1
	s_and_saveexec_b32 s0, vcc_lo
	s_cbranch_execz .LBB7_34
.LBB7_36:
	ds_load_u8 v2, v1 offset:8480
	v_add_nc_u32_e32 v0, v0, v1
	s_waitcnt lgkmcnt(0)
	global_store_b8 v0, v2, s[6:7]
	s_nop 0
	s_sendmsg sendmsg(MSG_DEALLOC_VGPRS)
	s_endpgm
	.section	.rodata,"a",@progbits
	.p2align	6, 0x0
	.amdhsa_kernel _Z16histogram_kernelILj256ELj3ELj512ELN6hipcub23BlockHistogramAlgorithmE1EhEvPT3_S3_
		.amdhsa_group_segment_fixed_size 8736
		.amdhsa_private_segment_fixed_size 0
		.amdhsa_kernarg_size 272
		.amdhsa_user_sgpr_count 15
		.amdhsa_user_sgpr_dispatch_ptr 0
		.amdhsa_user_sgpr_queue_ptr 0
		.amdhsa_user_sgpr_kernarg_segment_ptr 1
		.amdhsa_user_sgpr_dispatch_id 0
		.amdhsa_user_sgpr_private_segment_size 0
		.amdhsa_wavefront_size32 1
		.amdhsa_uses_dynamic_stack 0
		.amdhsa_enable_private_segment 0
		.amdhsa_system_sgpr_workgroup_id_x 1
		.amdhsa_system_sgpr_workgroup_id_y 0
		.amdhsa_system_sgpr_workgroup_id_z 0
		.amdhsa_system_sgpr_workgroup_info 0
		.amdhsa_system_vgpr_workitem_id 2
		.amdhsa_next_free_vgpr 28
		.amdhsa_next_free_sgpr 16
		.amdhsa_reserve_vcc 1
		.amdhsa_float_round_mode_32 0
		.amdhsa_float_round_mode_16_64 0
		.amdhsa_float_denorm_mode_32 3
		.amdhsa_float_denorm_mode_16_64 3
		.amdhsa_dx10_clamp 1
		.amdhsa_ieee_mode 1
		.amdhsa_fp16_overflow 0
		.amdhsa_workgroup_processor_mode 1
		.amdhsa_memory_ordered 1
		.amdhsa_forward_progress 0
		.amdhsa_shared_vgpr_count 0
		.amdhsa_exception_fp_ieee_invalid_op 0
		.amdhsa_exception_fp_denorm_src 0
		.amdhsa_exception_fp_ieee_div_zero 0
		.amdhsa_exception_fp_ieee_overflow 0
		.amdhsa_exception_fp_ieee_underflow 0
		.amdhsa_exception_fp_ieee_inexact 0
		.amdhsa_exception_int_div_zero 0
	.end_amdhsa_kernel
	.section	.text._Z16histogram_kernelILj256ELj3ELj512ELN6hipcub23BlockHistogramAlgorithmE1EhEvPT3_S3_,"axG",@progbits,_Z16histogram_kernelILj256ELj3ELj512ELN6hipcub23BlockHistogramAlgorithmE1EhEvPT3_S3_,comdat
.Lfunc_end7:
	.size	_Z16histogram_kernelILj256ELj3ELj512ELN6hipcub23BlockHistogramAlgorithmE1EhEvPT3_S3_, .Lfunc_end7-_Z16histogram_kernelILj256ELj3ELj512ELN6hipcub23BlockHistogramAlgorithmE1EhEvPT3_S3_
                                        ; -- End function
	.section	.AMDGPU.csdata,"",@progbits
; Kernel info:
; codeLenInByte = 2920
; NumSgprs: 18
; NumVgprs: 28
; ScratchSize: 0
; MemoryBound: 0
; FloatMode: 240
; IeeeMode: 1
; LDSByteSize: 8736 bytes/workgroup (compile time only)
; SGPRBlocks: 2
; VGPRBlocks: 3
; NumSGPRsForWavesPerEU: 18
; NumVGPRsForWavesPerEU: 28
; Occupancy: 16
; WaveLimiterHint : 0
; COMPUTE_PGM_RSRC2:SCRATCH_EN: 0
; COMPUTE_PGM_RSRC2:USER_SGPR: 15
; COMPUTE_PGM_RSRC2:TRAP_HANDLER: 0
; COMPUTE_PGM_RSRC2:TGID_X_EN: 1
; COMPUTE_PGM_RSRC2:TGID_Y_EN: 0
; COMPUTE_PGM_RSRC2:TGID_Z_EN: 0
; COMPUTE_PGM_RSRC2:TIDIG_COMP_CNT: 2
	.section	.text._Z16histogram_kernelILj32ELj2ELj64ELN6hipcub23BlockHistogramAlgorithmE1EhEvPT3_S3_,"axG",@progbits,_Z16histogram_kernelILj32ELj2ELj64ELN6hipcub23BlockHistogramAlgorithmE1EhEvPT3_S3_,comdat
	.protected	_Z16histogram_kernelILj32ELj2ELj64ELN6hipcub23BlockHistogramAlgorithmE1EhEvPT3_S3_ ; -- Begin function _Z16histogram_kernelILj32ELj2ELj64ELN6hipcub23BlockHistogramAlgorithmE1EhEvPT3_S3_
	.globl	_Z16histogram_kernelILj32ELj2ELj64ELN6hipcub23BlockHistogramAlgorithmE1EhEvPT3_S3_
	.p2align	8
	.type	_Z16histogram_kernelILj32ELj2ELj64ELN6hipcub23BlockHistogramAlgorithmE1EhEvPT3_S3_,@function
_Z16histogram_kernelILj32ELj2ELj64ELN6hipcub23BlockHistogramAlgorithmE1EhEvPT3_S3_: ; @_Z16histogram_kernelILj32ELj2ELj64ELN6hipcub23BlockHistogramAlgorithmE1EhEvPT3_S3_
; %bb.0:
	s_load_b128 s[4:7], s[0:1], 0x0
	v_and_b32_e32 v1, 0x3ff, v0
	s_lshl_b32 s8, s15, 6
	s_delay_alu instid0(VALU_DEP_1) | instskip(SKIP_1) | instid1(VALU_DEP_2)
	v_lshlrev_b32_e32 v10, 1, v1
	v_cmp_gt_u32_e64 s2, 64, v1
	v_or_b32_e32 v2, s8, v10
	s_waitcnt lgkmcnt(0)
	global_load_u16 v2, v2, s[4:5]
	s_and_saveexec_b32 s3, s2
	s_cbranch_execz .LBB8_2
; %bb.1:
	v_mov_b32_e32 v3, 0
	ds_store_b8 v1, v3 offset:1040
.LBB8_2:
	s_or_b32 exec_lo, exec_lo, s3
	v_cmp_gt_u32_e32 vcc_lo, 32, v1
	s_and_saveexec_b32 s3, vcc_lo
	s_cbranch_execz .LBB8_4
; %bb.3:
	v_mov_b32_e32 v3, 0
	ds_store_b8 v1, v3 offset:1072
.LBB8_4:
	s_or_b32 exec_lo, exec_lo, s3
	v_mbcnt_lo_u32_b32 v11, -1, 0
	s_waitcnt vmcnt(0)
	v_lshrrev_b16 v4, 8, v2
	v_and_b32_e32 v2, 0xff, v2
	s_waitcnt vmcnt(0) lgkmcnt(0)
	s_waitcnt_vscnt null, 0x0
	; wave barrier
	s_waitcnt lgkmcnt(0)
	buffer_gl0_inv
	v_lshlrev_b32_e32 v3, 1, v11
	v_and_b32_e32 v4, 0xffff, v4
	v_and_b32_e32 v7, 1, v11
	s_waitcnt vmcnt(0) lgkmcnt(0)
	s_waitcnt_vscnt null, 0x0
	; wave barrier
	buffer_gl0_inv
	v_and_b32_e32 v3, 60, v3
	v_cmp_eq_u32_e64 s3, 0, v7
	ds_bpermute_b32 v5, v3, v2
	ds_bpermute_b32 v6, v3, v4
	ds_bpermute_b32 v2, v3, v2 offset:64
	ds_bpermute_b32 v3, v3, v4 offset:64
	s_waitcnt lgkmcnt(3)
	v_and_b32_e32 v4, 0xff, v5
	s_waitcnt lgkmcnt(2)
	v_and_b32_e32 v5, 0xff, v6
	s_waitcnt lgkmcnt(1)
	v_lshlrev_b16 v2, 8, v2
	s_waitcnt lgkmcnt(0)
	v_lshlrev_b16 v3, 8, v3
	v_cndmask_b32_e64 v4, v5, v4, s3
	s_delay_alu instid0(VALU_DEP_1) | instskip(NEXT) | instid1(VALU_DEP_1)
	v_or_b32_e32 v2, v4, v2
	v_cndmask_b32_e64 v4, v5, v2, s3
	s_delay_alu instid0(VALU_DEP_1) | instskip(NEXT) | instid1(VALU_DEP_1)
	v_and_b32_e32 v4, 0xff, v4
	v_or_b32_e32 v3, v4, v3
	s_delay_alu instid0(VALU_DEP_1) | instskip(SKIP_1) | instid1(VALU_DEP_1)
	v_cndmask_b32_e64 v12, v3, v2, s3
	s_load_b32 s3, s[0:1], 0x1c
	v_and_b32_e32 v2, 1, v12
	v_lshlrev_b32_e32 v3, 30, v12
	v_lshlrev_b32_e32 v4, 29, v12
	;; [unrolled: 1-line block ×4, first 2 shown]
	v_add_co_u32 v2, s0, v2, -1
	s_delay_alu instid0(VALU_DEP_1)
	v_cndmask_b32_e64 v6, 0, 1, s0
	v_not_b32_e32 v13, v3
	v_cmp_gt_i32_e64 s1, 0, v3
	v_not_b32_e32 v3, v4
	v_lshlrev_b32_e32 v8, 26, v12
	v_cmp_ne_u32_e64 s0, 0, v6
	v_ashrrev_i32_e32 v13, 31, v13
	v_lshlrev_b32_e32 v9, 25, v12
	v_ashrrev_i32_e32 v3, 31, v3
	v_lshlrev_b32_e32 v6, 24, v12
	v_xor_b32_e32 v2, s0, v2
	v_cmp_gt_i32_e64 s0, 0, v4
	v_not_b32_e32 v4, v5
	v_xor_b32_e32 v13, s1, v13
	v_cmp_gt_i32_e64 s1, 0, v5
	v_and_b32_e32 v2, exec_lo, v2
	v_not_b32_e32 v5, v7
	v_ashrrev_i32_e32 v4, 31, v4
	v_xor_b32_e32 v3, s0, v3
	v_cmp_gt_i32_e64 s0, 0, v7
	v_and_b32_e32 v2, v2, v13
	v_not_b32_e32 v7, v8
	v_ashrrev_i32_e32 v5, 31, v5
	v_xor_b32_e32 v4, s1, v4
	v_cmp_gt_i32_e64 s1, 0, v8
	v_and_b32_e32 v2, v2, v3
	;; [unrolled: 5-line block ×3, first 2 shown]
	v_not_b32_e32 v4, v6
	v_ashrrev_i32_e32 v3, 31, v3
	v_xor_b32_e32 v7, s1, v7
	v_cmp_gt_i32_e64 s1, 0, v6
	v_mov_b32_e32 v6, 0
	v_and_b32_e32 v2, v2, v5
	v_ashrrev_i32_e32 v4, 31, v4
	v_xor_b32_e32 v3, s0, v3
	v_bfe_u32 v5, v0, 10, 10
	v_bfe_u32 v0, v0, 20, 10
	v_and_b32_e32 v2, v2, v7
	s_waitcnt lgkmcnt(0)
	s_lshr_b32 s0, s3, 16
	v_xor_b32_e32 v4, s1, v4
	v_lshlrev_b32_e32 v13, 5, v1
	v_mad_u32_u24 v0, v0, s0, v5
	v_and_b32_e32 v2, v2, v3
	s_and_b32 s0, s3, 0xffff
	ds_store_2addr_b32 v13, v6, v6 offset0:1 offset1:2
	ds_store_2addr_b32 v13, v6, v6 offset0:3 offset1:4
	;; [unrolled: 1-line block ×4, first 2 shown]
	s_waitcnt lgkmcnt(0)
	v_and_b32_e32 v3, v2, v4
	v_mad_u64_u32 v[4:5], null, v0, s0, v[1:2]
	v_and_b32_e32 v5, 0xff, v12
	; wave barrier
	buffer_gl0_inv
	v_mbcnt_lo_u32_b32 v0, v3, 0
	v_cmp_ne_u32_e64 s1, 0, v3
	; wave barrier
	v_lshrrev_b32_e32 v2, 5, v4
	s_delay_alu instid0(VALU_DEP_3) | instskip(SKIP_1) | instid1(VALU_DEP_3)
	v_cmp_eq_u32_e64 s0, 0, v0
	v_and_b32_e32 v4, 0xffff, v12
	v_add_lshl_u32 v14, v2, v5, 2
	s_delay_alu instid0(VALU_DEP_3) | instskip(NEXT) | instid1(SALU_CYCLE_1)
	s_and_b32 s1, s1, s0
	s_and_saveexec_b32 s0, s1
	s_cbranch_execz .LBB8_6
; %bb.5:
	v_bcnt_u32_b32 v3, v3, 0
	ds_store_b32 v14, v3 offset:4
.LBB8_6:
	s_or_b32 exec_lo, exec_lo, s0
	v_lshrrev_b16 v15, 8, v4
	; wave barrier
	v_or_b32_e32 v19, 4, v13
	s_delay_alu instid0(VALU_DEP_2) | instskip(NEXT) | instid1(VALU_DEP_1)
	v_and_b32_e32 v3, 0xffff, v15
	v_and_b32_e32 v4, 1, v3
	v_lshlrev_b32_e32 v5, 30, v3
	v_lshlrev_b32_e32 v6, 29, v3
	;; [unrolled: 1-line block ×4, first 2 shown]
	v_add_co_u32 v4, s0, v4, -1
	s_delay_alu instid0(VALU_DEP_1)
	v_cndmask_b32_e64 v8, 0, 1, s0
	v_not_b32_e32 v18, v5
	v_cmp_gt_i32_e64 s1, 0, v5
	v_not_b32_e32 v5, v6
	v_lshlrev_b32_e32 v16, 26, v3
	v_cmp_ne_u32_e64 s0, 0, v8
	v_ashrrev_i32_e32 v18, 31, v18
	v_lshlrev_b32_e32 v17, 25, v3
	v_ashrrev_i32_e32 v5, 31, v5
	v_lshlrev_b32_e32 v8, 24, v3
	v_xor_b32_e32 v4, s0, v4
	v_cmp_gt_i32_e64 s0, 0, v6
	v_not_b32_e32 v6, v7
	v_xor_b32_e32 v18, s1, v18
	v_cmp_gt_i32_e64 s1, 0, v7
	v_and_b32_e32 v4, exec_lo, v4
	v_not_b32_e32 v7, v9
	v_ashrrev_i32_e32 v6, 31, v6
	v_xor_b32_e32 v5, s0, v5
	v_cmp_gt_i32_e64 s0, 0, v9
	v_and_b32_e32 v4, v4, v18
	v_not_b32_e32 v9, v16
	v_ashrrev_i32_e32 v7, 31, v7
	v_xor_b32_e32 v6, s1, v6
	v_cmp_gt_i32_e64 s1, 0, v16
	v_and_b32_e32 v4, v4, v5
	;; [unrolled: 5-line block ×4, first 2 shown]
	v_ashrrev_i32_e32 v6, 31, v6
	v_xor_b32_e32 v5, s0, v5
	v_add_lshl_u32 v16, v2, v3, 2
	s_delay_alu instid0(VALU_DEP_4) | instskip(NEXT) | instid1(VALU_DEP_4)
	v_and_b32_e32 v4, v4, v9
	v_xor_b32_e32 v2, s1, v6
	ds_load_b32 v17, v16 offset:4
	v_and_b32_e32 v3, v4, v5
	; wave barrier
	s_delay_alu instid0(VALU_DEP_1) | instskip(NEXT) | instid1(VALU_DEP_1)
	v_and_b32_e32 v2, v3, v2
	v_mbcnt_lo_u32_b32 v18, v2, 0
	v_cmp_ne_u32_e64 s1, 0, v2
	s_delay_alu instid0(VALU_DEP_2) | instskip(NEXT) | instid1(VALU_DEP_1)
	v_cmp_eq_u32_e64 s0, 0, v18
	s_and_b32 s1, s1, s0
	s_delay_alu instid0(SALU_CYCLE_1)
	s_and_saveexec_b32 s0, s1
	s_cbranch_execz .LBB8_8
; %bb.7:
	s_waitcnt lgkmcnt(0)
	v_bcnt_u32_b32 v2, v2, v17
	ds_store_b32 v16, v2 offset:4
.LBB8_8:
	s_or_b32 exec_lo, exec_lo, s0
	; wave barrier
	s_waitcnt vmcnt(0) lgkmcnt(0)
	s_waitcnt_vscnt null, 0x0
	; wave barrier
	s_waitcnt lgkmcnt(0)
	buffer_gl0_inv
	ds_load_2addr_b32 v[8:9], v13 offset0:1 offset1:2
	ds_load_2addr_b32 v[6:7], v19 offset0:2 offset1:3
	;; [unrolled: 1-line block ×4, first 2 shown]
	s_mov_b32 s1, exec_lo
	s_waitcnt lgkmcnt(3)
	v_add_nc_u32_e32 v20, v9, v8
	s_waitcnt lgkmcnt(2)
	s_delay_alu instid0(VALU_DEP_1) | instskip(SKIP_1) | instid1(VALU_DEP_1)
	v_add3_u32 v20, v20, v6, v7
	s_waitcnt lgkmcnt(1)
	v_add3_u32 v20, v20, v4, v5
	s_waitcnt lgkmcnt(0)
	s_delay_alu instid0(VALU_DEP_1) | instskip(SKIP_1) | instid1(VALU_DEP_2)
	v_add3_u32 v3, v20, v2, v3
	v_and_b32_e32 v20, 15, v11
	v_mov_b32_dpp v21, v3 row_shr:1 row_mask:0xf bank_mask:0xf
	s_delay_alu instid0(VALU_DEP_2) | instskip(NEXT) | instid1(VALU_DEP_1)
	v_cmp_ne_u32_e64 s0, 0, v20
	v_cndmask_b32_e64 v21, 0, v21, s0
	v_cmp_lt_u32_e64 s0, 1, v20
	s_delay_alu instid0(VALU_DEP_2) | instskip(NEXT) | instid1(VALU_DEP_1)
	v_add_nc_u32_e32 v3, v21, v3
	v_mov_b32_dpp v21, v3 row_shr:2 row_mask:0xf bank_mask:0xf
	s_delay_alu instid0(VALU_DEP_1) | instskip(SKIP_1) | instid1(VALU_DEP_2)
	v_cndmask_b32_e64 v21, 0, v21, s0
	v_cmp_lt_u32_e64 s0, 3, v20
	v_add_nc_u32_e32 v3, v3, v21
	s_delay_alu instid0(VALU_DEP_1) | instskip(NEXT) | instid1(VALU_DEP_1)
	v_mov_b32_dpp v21, v3 row_shr:4 row_mask:0xf bank_mask:0xf
	v_cndmask_b32_e64 v21, 0, v21, s0
	v_cmp_lt_u32_e64 s0, 7, v20
	s_delay_alu instid0(VALU_DEP_2) | instskip(NEXT) | instid1(VALU_DEP_1)
	v_add_nc_u32_e32 v3, v3, v21
	v_mov_b32_dpp v21, v3 row_shr:8 row_mask:0xf bank_mask:0xf
	s_delay_alu instid0(VALU_DEP_1) | instskip(SKIP_1) | instid1(VALU_DEP_2)
	v_cndmask_b32_e64 v20, 0, v21, s0
	v_bfe_i32 v21, v11, 4, 1
	v_add_nc_u32_e32 v3, v3, v20
	ds_swizzle_b32 v20, v3 offset:swizzle(BROADCAST,32,15)
	s_waitcnt lgkmcnt(0)
	v_and_b32_e32 v20, v21, v20
	s_delay_alu instid0(VALU_DEP_1)
	v_add_nc_u32_e32 v3, v3, v20
	v_cmpx_eq_u32_e32 31, v1
	s_cbranch_execz .LBB8_10
; %bb.9:
	v_mov_b32_e32 v20, 0
	ds_store_b32 v20, v3
.LBB8_10:
	s_or_b32 exec_lo, exec_lo, s1
	v_add_nc_u32_e32 v20, -1, v11
	v_cmp_eq_u32_e64 s1, 0, v11
	s_waitcnt vmcnt(0) lgkmcnt(0)
	s_waitcnt_vscnt null, 0x0
	; wave barrier
	s_waitcnt lgkmcnt(0)
	buffer_gl0_inv
	v_cmp_gt_i32_e64 s0, 0, v20
	s_delay_alu instid0(VALU_DEP_1) | instskip(SKIP_1) | instid1(VALU_DEP_2)
	v_cndmask_b32_e64 v20, v20, v11, s0
	v_cmp_eq_u32_e64 s0, 0, v1
	v_lshlrev_b32_e32 v20, 2, v20
	s_delay_alu instid0(VALU_DEP_2) | instskip(SKIP_4) | instid1(VALU_DEP_2)
	s_or_b32 s1, s0, s1
	ds_bpermute_b32 v3, v20, v3
	s_waitcnt lgkmcnt(0)
	v_cndmask_b32_e64 v3, v3, 0, s1
	v_cmp_ne_u32_e64 s1, 0, v1
	v_add_nc_u32_e32 v8, v3, v8
	s_delay_alu instid0(VALU_DEP_1) | instskip(NEXT) | instid1(VALU_DEP_1)
	v_add_nc_u32_e32 v9, v8, v9
	v_add_nc_u32_e32 v6, v9, v6
	s_delay_alu instid0(VALU_DEP_1) | instskip(NEXT) | instid1(VALU_DEP_1)
	v_add_nc_u32_e32 v7, v6, v7
	;; [unrolled: 3-line block ×3, first 2 shown]
	v_add_nc_u32_e32 v2, v5, v2
	ds_store_2addr_b32 v13, v3, v8 offset0:1 offset1:2
	ds_store_2addr_b32 v19, v9, v6 offset0:2 offset1:3
	;; [unrolled: 1-line block ×4, first 2 shown]
	s_waitcnt vmcnt(0) lgkmcnt(0)
	s_waitcnt_vscnt null, 0x0
	; wave barrier
	s_waitcnt lgkmcnt(0)
	buffer_gl0_inv
	ds_load_b32 v2, v14 offset:4
	ds_load_b32 v3, v16 offset:4
	s_waitcnt vmcnt(0) lgkmcnt(0)
	s_waitcnt_vscnt null, 0x0
	; wave barrier
	s_waitcnt lgkmcnt(0)
	buffer_gl0_inv
	v_add_nc_u32_e32 v0, v2, v0
	v_add3_u32 v2, v18, v17, v3
	ds_store_b8 v0, v12
	ds_store_b8 v2, v15
	s_waitcnt vmcnt(0) lgkmcnt(0)
	s_waitcnt_vscnt null, 0x0
	; wave barrier
	s_waitcnt lgkmcnt(0)
	buffer_gl0_inv
	ds_load_u8 v0, v10
	ds_load_u8 v2, v10 offset:1
	s_waitcnt vmcnt(0) lgkmcnt(0)
	s_waitcnt_vscnt null, 0x0
	; wave barrier
	s_waitcnt lgkmcnt(0)
	buffer_gl0_inv
	s_and_saveexec_b32 s4, s2
	s_cbranch_execz .LBB8_13
; %bb.11:
	v_lshl_add_u32 v3, v1, 2, 64
	v_dual_mov_b32 v4, 64 :: v_dual_mov_b32 v5, v1
	s_mov_b32 s5, 0
.LBB8_12:                               ; =>This Inner Loop Header: Depth=1
	s_delay_alu instid0(VALU_DEP_1) | instskip(SKIP_3) | instid1(VALU_DEP_1)
	v_add_nc_u32_e32 v5, 32, v5
	ds_store_2addr_stride64_b32 v3, v4, v4 offset1:1
	v_add_nc_u32_e32 v3, 0x80, v3
	v_cmp_lt_u32_e64 s3, 63, v5
	s_or_b32 s5, s3, s5
	s_delay_alu instid0(SALU_CYCLE_1)
	s_and_not1_b32 exec_lo, exec_lo, s5
	s_cbranch_execnz .LBB8_12
.LBB8_13:
	s_or_b32 exec_lo, exec_lo, s4
	v_and_b32_e32 v3, 0xff, v2
	v_and_b32_e32 v0, 0xff, v0
	s_mov_b32 s4, exec_lo
	s_waitcnt vmcnt(0) lgkmcnt(0)
	s_waitcnt_vscnt null, 0x0
	; wave barrier
	s_waitcnt lgkmcnt(0)
	buffer_gl0_inv
	ds_store_b8 v1, v2
	v_cmpx_ne_u16_e64 v0, v3
	s_cbranch_execz .LBB8_15
; %bb.14:
	v_or_b32_e32 v2, 1, v10
	v_lshlrev_b32_e32 v3, 2, v3
	v_lshlrev_b32_e32 v4, 2, v0
	ds_store_b32 v3, v2 offset:64
	ds_store_b32 v4, v2 offset:320
.LBB8_15:
	s_or_b32 exec_lo, exec_lo, s4
	s_waitcnt vmcnt(0) lgkmcnt(0)
	s_waitcnt_vscnt null, 0x0
	; wave barrier
	s_waitcnt lgkmcnt(0)
	buffer_gl0_inv
	s_and_saveexec_b32 s3, s1
	s_cbranch_execz .LBB8_18
; %bb.16:
	v_add_nc_u32_e32 v2, -1, v1
	ds_load_u8 v3, v2
	s_waitcnt lgkmcnt(0)
	v_cmp_ne_u16_e64 s1, v3, v0
	s_delay_alu instid0(VALU_DEP_1)
	s_and_b32 exec_lo, exec_lo, s1
	s_cbranch_execz .LBB8_18
; %bb.17:
	v_lshlrev_b32_e32 v3, 2, v0
	ds_store_b32 v3, v10 offset:64
	ds_load_u8 v2, v2
	s_waitcnt lgkmcnt(0)
	v_lshlrev_b32_e32 v2, 2, v2
	ds_store_b32 v2, v10 offset:320
.LBB8_18:
	s_or_b32 exec_lo, exec_lo, s3
	s_waitcnt vmcnt(0) lgkmcnt(0)
	s_waitcnt_vscnt null, 0x0
	; wave barrier
	s_waitcnt lgkmcnt(0)
	buffer_gl0_inv
	s_and_saveexec_b32 s1, s0
	s_cbranch_execz .LBB8_20
; %bb.19:
	v_lshlrev_b32_e32 v0, 2, v0
	v_mov_b32_e32 v2, 0
	ds_store_b32 v0, v2 offset:64
.LBB8_20:
	s_or_b32 exec_lo, exec_lo, s1
	v_lshlrev_b32_e32 v0, 2, v1
	s_waitcnt vmcnt(0) lgkmcnt(0)
	s_waitcnt_vscnt null, 0x0
	; wave barrier
	s_waitcnt lgkmcnt(0)
	buffer_gl0_inv
	s_and_saveexec_b32 s0, s2
	s_cbranch_execz .LBB8_22
; %bb.21:
	ds_load_2addr_b32 v[2:3], v0 offset0:16 offset1:80
	ds_load_u8 v4, v1 offset:1040
	s_waitcnt lgkmcnt(1)
	v_sub_nc_u32_e32 v2, v3, v2
	s_waitcnt lgkmcnt(0)
	s_delay_alu instid0(VALU_DEP_1)
	v_add_nc_u16 v2, v4, v2
	ds_store_b8 v1, v2 offset:1040
.LBB8_22:
	s_or_b32 exec_lo, exec_lo, s0
	s_and_saveexec_b32 s0, vcc_lo
	s_cbranch_execz .LBB8_24
; %bb.23:
	ds_load_2addr_b32 v[2:3], v0 offset0:48 offset1:112
	ds_load_u8 v0, v1 offset:1072
	s_waitcnt lgkmcnt(1)
	v_sub_nc_u32_e32 v2, v3, v2
	s_waitcnt lgkmcnt(0)
	s_delay_alu instid0(VALU_DEP_1)
	v_add_nc_u16 v0, v0, v2
	ds_store_b8 v1, v0 offset:1072
.LBB8_24:
	s_or_b32 exec_lo, exec_lo, s0
	v_mov_b32_e32 v0, s8
	s_waitcnt vmcnt(0) lgkmcnt(0)
	s_waitcnt_vscnt null, 0x0
	; wave barrier
	s_waitcnt lgkmcnt(0)
	buffer_gl0_inv
	s_and_saveexec_b32 s0, s2
	s_cbranch_execnz .LBB8_27
; %bb.25:
	s_or_b32 exec_lo, exec_lo, s0
	s_and_saveexec_b32 s0, vcc_lo
	s_cbranch_execnz .LBB8_28
.LBB8_26:
	s_nop 0
	s_sendmsg sendmsg(MSG_DEALLOC_VGPRS)
	s_endpgm
.LBB8_27:
	ds_load_u8 v2, v1 offset:1040
	s_or_b32 s1, s8, 32
	v_or_b32_e32 v3, s8, v1
	v_mov_b32_e32 v0, s1
	s_waitcnt lgkmcnt(0)
	global_store_b8 v3, v2, s[6:7]
	s_or_b32 exec_lo, exec_lo, s0
	s_and_saveexec_b32 s0, vcc_lo
	s_cbranch_execz .LBB8_26
.LBB8_28:
	ds_load_u8 v2, v1 offset:1072
	v_add_nc_u32_e32 v0, v0, v1
	s_waitcnt lgkmcnt(0)
	global_store_b8 v0, v2, s[6:7]
	s_nop 0
	s_sendmsg sendmsg(MSG_DEALLOC_VGPRS)
	s_endpgm
	.section	.rodata,"a",@progbits
	.p2align	6, 0x0
	.amdhsa_kernel _Z16histogram_kernelILj32ELj2ELj64ELN6hipcub23BlockHistogramAlgorithmE1EhEvPT3_S3_
		.amdhsa_group_segment_fixed_size 1104
		.amdhsa_private_segment_fixed_size 0
		.amdhsa_kernarg_size 272
		.amdhsa_user_sgpr_count 15
		.amdhsa_user_sgpr_dispatch_ptr 0
		.amdhsa_user_sgpr_queue_ptr 0
		.amdhsa_user_sgpr_kernarg_segment_ptr 1
		.amdhsa_user_sgpr_dispatch_id 0
		.amdhsa_user_sgpr_private_segment_size 0
		.amdhsa_wavefront_size32 1
		.amdhsa_uses_dynamic_stack 0
		.amdhsa_enable_private_segment 0
		.amdhsa_system_sgpr_workgroup_id_x 1
		.amdhsa_system_sgpr_workgroup_id_y 0
		.amdhsa_system_sgpr_workgroup_id_z 0
		.amdhsa_system_sgpr_workgroup_info 0
		.amdhsa_system_vgpr_workitem_id 2
		.amdhsa_next_free_vgpr 22
		.amdhsa_next_free_sgpr 16
		.amdhsa_reserve_vcc 1
		.amdhsa_float_round_mode_32 0
		.amdhsa_float_round_mode_16_64 0
		.amdhsa_float_denorm_mode_32 3
		.amdhsa_float_denorm_mode_16_64 3
		.amdhsa_dx10_clamp 1
		.amdhsa_ieee_mode 1
		.amdhsa_fp16_overflow 0
		.amdhsa_workgroup_processor_mode 1
		.amdhsa_memory_ordered 1
		.amdhsa_forward_progress 0
		.amdhsa_shared_vgpr_count 0
		.amdhsa_exception_fp_ieee_invalid_op 0
		.amdhsa_exception_fp_denorm_src 0
		.amdhsa_exception_fp_ieee_div_zero 0
		.amdhsa_exception_fp_ieee_overflow 0
		.amdhsa_exception_fp_ieee_underflow 0
		.amdhsa_exception_fp_ieee_inexact 0
		.amdhsa_exception_int_div_zero 0
	.end_amdhsa_kernel
	.section	.text._Z16histogram_kernelILj32ELj2ELj64ELN6hipcub23BlockHistogramAlgorithmE1EhEvPT3_S3_,"axG",@progbits,_Z16histogram_kernelILj32ELj2ELj64ELN6hipcub23BlockHistogramAlgorithmE1EhEvPT3_S3_,comdat
.Lfunc_end8:
	.size	_Z16histogram_kernelILj32ELj2ELj64ELN6hipcub23BlockHistogramAlgorithmE1EhEvPT3_S3_, .Lfunc_end8-_Z16histogram_kernelILj32ELj2ELj64ELN6hipcub23BlockHistogramAlgorithmE1EhEvPT3_S3_
                                        ; -- End function
	.section	.AMDGPU.csdata,"",@progbits
; Kernel info:
; codeLenInByte = 2336
; NumSgprs: 18
; NumVgprs: 22
; ScratchSize: 0
; MemoryBound: 0
; FloatMode: 240
; IeeeMode: 1
; LDSByteSize: 1104 bytes/workgroup (compile time only)
; SGPRBlocks: 2
; VGPRBlocks: 2
; NumSGPRsForWavesPerEU: 18
; NumVGPRsForWavesPerEU: 22
; Occupancy: 16
; WaveLimiterHint : 0
; COMPUTE_PGM_RSRC2:SCRATCH_EN: 0
; COMPUTE_PGM_RSRC2:USER_SGPR: 15
; COMPUTE_PGM_RSRC2:TRAP_HANDLER: 0
; COMPUTE_PGM_RSRC2:TGID_X_EN: 1
; COMPUTE_PGM_RSRC2:TGID_Y_EN: 0
; COMPUTE_PGM_RSRC2:TGID_Z_EN: 0
; COMPUTE_PGM_RSRC2:TIDIG_COMP_CNT: 2
	.section	.text._Z16histogram_kernelILj6ELj32ELj18ELN6hipcub23BlockHistogramAlgorithmE1EhEvPT3_S3_,"axG",@progbits,_Z16histogram_kernelILj6ELj32ELj18ELN6hipcub23BlockHistogramAlgorithmE1EhEvPT3_S3_,comdat
	.protected	_Z16histogram_kernelILj6ELj32ELj18ELN6hipcub23BlockHistogramAlgorithmE1EhEvPT3_S3_ ; -- Begin function _Z16histogram_kernelILj6ELj32ELj18ELN6hipcub23BlockHistogramAlgorithmE1EhEvPT3_S3_
	.globl	_Z16histogram_kernelILj6ELj32ELj18ELN6hipcub23BlockHistogramAlgorithmE1EhEvPT3_S3_
	.p2align	8
	.type	_Z16histogram_kernelILj6ELj32ELj18ELN6hipcub23BlockHistogramAlgorithmE1EhEvPT3_S3_,@function
_Z16histogram_kernelILj6ELj32ELj18ELN6hipcub23BlockHistogramAlgorithmE1EhEvPT3_S3_: ; @_Z16histogram_kernelILj6ELj32ELj18ELN6hipcub23BlockHistogramAlgorithmE1EhEvPT3_S3_
; %bb.0:
	s_load_b128 s[8:11], s[0:1], 0x0
	s_mul_i32 s0, s15, 6
	v_cmp_gt_u32_e64 s2, 18, v0
	v_add_lshl_u32 v5, s0, v0, 5
	s_waitcnt lgkmcnt(0)
	s_clause 0x1
	global_load_b128 v[1:4], v5, s[8:9]
	global_load_b128 v[5:8], v5, s[8:9] offset:16
	s_and_saveexec_b32 s0, s2
	s_cbranch_execnz .LBB9_91
; %bb.1:
	s_or_b32 exec_lo, exec_lo, s0
	v_cmp_gt_u32_e64 s1, 12, v0
	s_delay_alu instid0(VALU_DEP_1)
	s_and_saveexec_b32 s0, s1
	s_cbranch_execnz .LBB9_92
.LBB9_2:
	s_or_b32 exec_lo, exec_lo, s0
	v_cmp_gt_u32_e64 s0, 6, v0
	s_delay_alu instid0(VALU_DEP_1)
	s_and_saveexec_b32 s3, s0
	s_cbranch_execz .LBB9_4
.LBB9_3:
	v_mov_b32_e32 v9, 0
	ds_store_b8 v0, v9 offset:220
.LBB9_4:
	s_or_b32 exec_lo, exec_lo, s3
	v_mbcnt_lo_u32_b32 v14, -1, 0
	s_waitcnt vmcnt(1)
	v_lshrrev_b64 v[9:10], 24, v[1:2]
	v_lshrrev_b64 v[10:11], 24, v[3:4]
	s_waitcnt vmcnt(0)
	v_lshrrev_b64 v[11:12], 24, v[5:6]
	v_lshrrev_b64 v[12:13], 24, v[7:8]
	v_add_nc_u32_e32 v15, -1, v14
	v_and_b32_e32 v16, 24, v14
	v_and_b32_e32 v17, 7, v14
	v_lshrrev_b32_e32 v74, 8, v1
	v_lshrrev_b32_e32 v76, 16, v1
	;; [unrolled: 1-line block ×4, first 2 shown]
	v_cmp_eq_u32_e64 s4, 0, v17
	v_cmp_lt_u32_e64 s5, 1, v17
	v_cmp_lt_u32_e64 s6, 3, v17
	v_mov_b32_e32 v17, 0
	v_cmp_lt_i32_e32 vcc_lo, v15, v16
	v_lshrrev_b32_e32 v105, 24, v2
	v_lshrrev_b32_e32 v106, 8, v3
	;; [unrolled: 1-line block ×4, first 2 shown]
	v_cndmask_b32_e32 v15, v15, v14, vcc_lo
	v_lshrrev_b32_e32 v109, 16, v4
	v_lshrrev_b32_e32 v110, 24, v4
	;; [unrolled: 1-line block ×12, first 2 shown]
	v_cmp_gt_u32_e64 s3, 48, v0
	v_lshlrev_b32_e32 v13, 5, v0
	v_cmp_eq_u32_e64 s7, 5, v0
	v_cmp_eq_u32_e64 s8, 0, v14
	v_lshlrev_b32_e32 v14, 2, v0
	v_lshlrev_b32_e32 v15, 2, v15
	v_add_nc_u32_e32 v16, -6, v0
	s_mov_b32 s12, 0
	s_mov_b32 s9, -1
	s_waitcnt vmcnt(0) lgkmcnt(0)
	s_waitcnt_vscnt null, 0x0
	; wave barrier
	s_waitcnt lgkmcnt(0)
	buffer_gl0_inv
	s_branch .LBB9_6
.LBB9_5:                                ;   in Loop: Header=BB9_6 Depth=1
	v_add_nc_u32_e32 v1, v100, v92
	v_add_nc_u32_e32 v2, v99, v91
	;; [unrolled: 1-line block ×4, first 2 shown]
	; wave barrier
	buffer_gl0_inv
	ds_store_b8 v1, v49
	ds_store_b8 v2, v48
	ds_store_b8 v3, v47
	ds_store_b8 v4, v46
	v_add_nc_u32_e32 v1, v96, v88
	v_add_nc_u32_e32 v2, v95, v87
	v_add_nc_u32_e32 v3, v94, v59
	v_add_nc_u32_e32 v4, v93, v54
	v_add_nc_u32_e32 v5, v101, v56
	ds_store_b8 v1, v45
	ds_store_b8 v2, v44
	ds_store_b8 v3, v43
	ds_store_b8 v4, v42
	ds_store_b8 v5, v41
	v_add_nc_u32_e32 v1, v86, v102
	v_add_nc_u32_e32 v2, v85, v79
	v_add_nc_u32_e32 v3, v84, v65
	v_add_nc_u32_e32 v4, v83, v104
	v_add_nc_u32_e32 v5, v82, v103
	ds_store_b8 v1, v40
	;; [unrolled: 10-line block ×3, first 2 shown]
	ds_store_b8 v2, v34
	ds_store_b8 v3, v33
	;; [unrolled: 1-line block ×17, first 2 shown]
	s_waitcnt vmcnt(0) lgkmcnt(0)
	s_waitcnt_vscnt null, 0x0
	; wave barrier
	s_waitcnt lgkmcnt(0)
	buffer_gl0_inv
	ds_load_b128 v[1:4], v13
	ds_load_b128 v[5:8], v13 offset:16
	s_mov_b32 s9, 0
	s_mov_b32 s12, 4
	s_waitcnt vmcnt(0) lgkmcnt(0)
	s_waitcnt_vscnt null, 0x0
	; wave barrier
	s_waitcnt lgkmcnt(0)
	buffer_gl0_inv
	v_lshrrev_b32_e32 v74, 8, v1
	v_lshrrev_b32_e32 v76, 16, v1
	v_lshrrev_b32_e32 v78, 8, v2
	v_lshrrev_b32_e32 v80, 16, v2
	v_lshrrev_b32_e32 v105, 24, v2
	v_lshrrev_b32_e32 v106, 8, v3
	v_lshrrev_b32_e32 v107, 16, v3
	v_lshrrev_b32_e32 v108, 8, v4
	v_lshrrev_b32_e32 v109, 16, v4
	v_lshrrev_b32_e32 v110, 24, v4
	v_lshrrev_b32_e32 v111, 8, v5
	v_lshrrev_b32_e32 v112, 16, v5
	v_lshrrev_b32_e32 v113, 8, v6
	v_lshrrev_b32_e32 v114, 16, v6
	v_lshrrev_b32_e32 v115, 24, v6
	v_lshrrev_b32_e32 v116, 8, v7
	v_lshrrev_b32_e32 v117, 16, v7
	v_lshrrev_b32_e32 v118, 8, v8
	v_lshrrev_b32_e32 v119, 16, v8
	v_lshrrev_b32_e32 v120, 24, v8
	v_lshrrev_b32_e32 v9, 24, v1
	v_lshrrev_b32_e32 v10, 24, v3
	v_lshrrev_b32_e32 v11, 24, v5
	v_lshrrev_b32_e32 v12, 24, v7
	s_cbranch_execz .LBB9_13
.LBB9_6:                                ; =>This Loop Header: Depth=1
                                        ;     Child Loop BB9_8 Depth 2
	v_dual_mov_b32 v49, v1 :: v_dual_mov_b32 v48, v74
	v_dual_mov_b32 v47, v76 :: v_dual_mov_b32 v46, v9
	;; [unrolled: 1-line block ×16, first 2 shown]
	s_and_saveexec_b32 s13, s3
	s_cbranch_execz .LBB9_9
; %bb.7:                                ;   in Loop: Header=BB9_6 Depth=1
	v_dual_mov_b32 v1, v16 :: v_dual_mov_b32 v2, v14
	s_mov_b32 s14, 0
.LBB9_8:                                ;   Parent Loop BB9_6 Depth=1
                                        ; =>  This Inner Loop Header: Depth=2
	s_delay_alu instid0(VALU_DEP_1) | instskip(SKIP_4) | instid1(SALU_CYCLE_1)
	v_add_nc_u32_e32 v1, 6, v1
	ds_store_b32 v2, v17
	v_add_nc_u32_e32 v2, 24, v2
	v_cmp_lt_u32_e32 vcc_lo, 41, v1
	s_or_b32 s14, vcc_lo, s14
	s_and_not1_b32 exec_lo, exec_lo, s14
	s_cbranch_execnz .LBB9_8
.LBB9_9:                                ;   in Loop: Header=BB9_6 Depth=1
	s_or_b32 exec_lo, exec_lo, s13
	v_and_b32_e32 v1, 0xff, v49
	s_delay_alu instid0(VALU_DEP_1) | instskip(SKIP_1) | instid1(VALU_DEP_2)
	v_lshrrev_b32_e32 v2, s12, v1
	v_bfe_u32 v1, v1, s12, 3
	v_lshrrev_b32_e32 v2, 2, v2
	s_delay_alu instid0(VALU_DEP_2) | instskip(NEXT) | instid1(VALU_DEP_2)
	v_mad_u32_u24 v1, v1, 6, v0
	v_and_b32_e32 v2, 2, v2
	s_delay_alu instid0(VALU_DEP_1) | instskip(SKIP_4) | instid1(VALU_DEP_2)
	v_lshl_or_b32 v9, v1, 2, v2
	v_and_b32_e32 v1, 0xff, v48
	ds_load_u16 v11, v9
	v_lshrrev_b32_e32 v2, s12, v1
	v_bfe_u32 v1, v1, s12, 3
	v_lshrrev_b32_e32 v2, 2, v2
	s_delay_alu instid0(VALU_DEP_2) | instskip(NEXT) | instid1(VALU_DEP_2)
	v_mad_u32_u24 v1, v1, 6, v0
	v_and_b32_e32 v2, 2, v2
	s_delay_alu instid0(VALU_DEP_1) | instskip(SKIP_3) | instid1(VALU_DEP_2)
	v_lshl_or_b32 v10, v1, 2, v2
	v_and_b32_e32 v1, 0xff, v47
	s_waitcnt lgkmcnt(0)
	v_add_nc_u16 v3, v11, 1
	v_lshrrev_b32_e32 v2, s12, v1
	v_bfe_u32 v1, v1, s12, 3
	ds_store_b16 v9, v3
	ds_load_u16 v50, v10
	v_lshrrev_b32_e32 v2, 2, v2
	v_mad_u32_u24 v1, v1, 6, v0
	s_delay_alu instid0(VALU_DEP_2) | instskip(NEXT) | instid1(VALU_DEP_1)
	v_and_b32_e32 v2, 2, v2
	v_lshl_or_b32 v12, v1, 2, v2
	v_and_b32_e32 v1, 0xff, v46
	s_delay_alu instid0(VALU_DEP_1) | instskip(SKIP_3) | instid1(VALU_DEP_3)
	v_lshrrev_b32_e32 v2, s12, v1
	v_bfe_u32 v1, v1, s12, 3
	s_waitcnt lgkmcnt(0)
	v_add_nc_u16 v3, v50, 1
	v_lshrrev_b32_e32 v2, 2, v2
	s_delay_alu instid0(VALU_DEP_3) | instskip(SKIP_3) | instid1(VALU_DEP_1)
	v_mad_u32_u24 v1, v1, 6, v0
	ds_store_b16 v10, v3
	ds_load_u16 v52, v12
	v_and_b32_e32 v2, 2, v2
	v_lshl_or_b32 v51, v1, 2, v2
	v_and_b32_e32 v1, 0xff, v45
	s_delay_alu instid0(VALU_DEP_1) | instskip(SKIP_1) | instid1(VALU_DEP_2)
	v_lshrrev_b32_e32 v2, s12, v1
	v_bfe_u32 v1, v1, s12, 3
	v_lshrrev_b32_e32 v2, 2, v2
	s_delay_alu instid0(VALU_DEP_2) | instskip(SKIP_2) | instid1(VALU_DEP_3)
	v_mad_u32_u24 v1, v1, 6, v0
	s_waitcnt lgkmcnt(0)
	v_add_nc_u16 v3, v52, 1
	v_and_b32_e32 v2, 2, v2
	ds_store_b16 v12, v3
	ds_load_u16 v54, v51
	v_lshl_or_b32 v53, v1, 2, v2
	v_and_b32_e32 v1, 0xff, v44
	s_delay_alu instid0(VALU_DEP_1) | instskip(SKIP_1) | instid1(VALU_DEP_2)
	v_lshrrev_b32_e32 v2, s12, v1
	v_bfe_u32 v1, v1, s12, 3
	v_lshrrev_b32_e32 v2, 2, v2
	s_delay_alu instid0(VALU_DEP_2) | instskip(NEXT) | instid1(VALU_DEP_2)
	v_mad_u32_u24 v1, v1, 6, v0
	v_and_b32_e32 v2, 2, v2
	s_waitcnt lgkmcnt(0)
	v_add_nc_u16 v3, v54, 1
	s_delay_alu instid0(VALU_DEP_2)
	v_lshl_or_b32 v55, v1, 2, v2
	v_and_b32_e32 v1, 0xff, v43
	ds_store_b16 v51, v3
	ds_load_u16 v56, v53
	v_lshrrev_b32_e32 v2, s12, v1
	v_bfe_u32 v1, v1, s12, 3
	s_delay_alu instid0(VALU_DEP_2) | instskip(NEXT) | instid1(VALU_DEP_2)
	v_lshrrev_b32_e32 v2, 2, v2
	v_mad_u32_u24 v1, v1, 6, v0
	s_delay_alu instid0(VALU_DEP_2) | instskip(NEXT) | instid1(VALU_DEP_1)
	v_and_b32_e32 v2, 2, v2
	v_lshl_or_b32 v57, v1, 2, v2
	v_and_b32_e32 v1, 0xff, v42
	s_waitcnt lgkmcnt(0)
	v_add_nc_u16 v3, v56, 1
	s_delay_alu instid0(VALU_DEP_2)
	v_lshrrev_b32_e32 v2, s12, v1
	v_bfe_u32 v1, v1, s12, 3
	ds_store_b16 v53, v3
	ds_load_u16 v59, v55
	v_lshrrev_b32_e32 v2, 2, v2
	v_mad_u32_u24 v1, v1, 6, v0
	s_delay_alu instid0(VALU_DEP_2) | instskip(NEXT) | instid1(VALU_DEP_1)
	v_and_b32_e32 v2, 2, v2
	v_lshl_or_b32 v61, v1, 2, v2
	v_and_b32_e32 v1, 0xff, v41
	s_delay_alu instid0(VALU_DEP_1) | instskip(SKIP_3) | instid1(VALU_DEP_3)
	v_lshrrev_b32_e32 v2, s12, v1
	v_bfe_u32 v1, v1, s12, 3
	s_waitcnt lgkmcnt(0)
	v_add_nc_u16 v3, v59, 1
	v_lshrrev_b32_e32 v2, 2, v2
	s_delay_alu instid0(VALU_DEP_3) | instskip(SKIP_3) | instid1(VALU_DEP_1)
	v_mad_u32_u24 v1, v1, 6, v0
	ds_store_b16 v55, v3
	ds_load_u16 v63, v57
	v_and_b32_e32 v2, 2, v2
	v_lshl_or_b32 v60, v1, 2, v2
	v_and_b32_e32 v1, 0xff, v40
	s_delay_alu instid0(VALU_DEP_1) | instskip(SKIP_1) | instid1(VALU_DEP_2)
	v_lshrrev_b32_e32 v2, s12, v1
	v_bfe_u32 v1, v1, s12, 3
	v_lshrrev_b32_e32 v2, 2, v2
	s_delay_alu instid0(VALU_DEP_2) | instskip(SKIP_2) | instid1(VALU_DEP_3)
	v_mad_u32_u24 v1, v1, 6, v0
	s_waitcnt lgkmcnt(0)
	v_add_nc_u16 v3, v63, 1
	v_and_b32_e32 v2, 2, v2
	ds_store_b16 v57, v3
	ds_load_u16 v67, v61
	v_lshl_or_b32 v64, v1, 2, v2
	v_and_b32_e32 v1, 0xff, v39
	s_delay_alu instid0(VALU_DEP_1) | instskip(SKIP_1) | instid1(VALU_DEP_2)
	v_lshrrev_b32_e32 v2, s12, v1
	v_bfe_u32 v1, v1, s12, 3
	v_lshrrev_b32_e32 v2, 2, v2
	s_delay_alu instid0(VALU_DEP_2) | instskip(NEXT) | instid1(VALU_DEP_2)
	v_mad_u32_u24 v1, v1, 6, v0
	v_and_b32_e32 v2, 2, v2
	s_waitcnt lgkmcnt(0)
	v_add_nc_u16 v3, v67, 1
	s_delay_alu instid0(VALU_DEP_2)
	v_lshl_or_b32 v68, v1, 2, v2
	v_and_b32_e32 v1, 0xff, v38
	ds_store_b16 v61, v3
	ds_load_u16 v69, v60
	v_lshrrev_b32_e32 v2, s12, v1
	v_bfe_u32 v1, v1, s12, 3
	s_delay_alu instid0(VALU_DEP_2) | instskip(NEXT) | instid1(VALU_DEP_2)
	v_lshrrev_b32_e32 v2, 2, v2
	v_mad_u32_u24 v1, v1, 6, v0
	s_delay_alu instid0(VALU_DEP_2) | instskip(NEXT) | instid1(VALU_DEP_1)
	v_and_b32_e32 v2, 2, v2
	v_lshl_or_b32 v71, v1, 2, v2
	v_and_b32_e32 v1, 0xff, v37
	s_waitcnt lgkmcnt(0)
	v_add_nc_u16 v3, v69, 1
	s_delay_alu instid0(VALU_DEP_2) | instskip(SKIP_4) | instid1(VALU_DEP_2)
	v_lshrrev_b32_e32 v2, s12, v1
	ds_store_b16 v60, v3
	ds_load_u16 v58, v64
	v_bfe_u32 v1, v1, s12, 3
	v_lshrrev_b32_e32 v2, 2, v2
	v_mad_u32_u24 v1, v1, 6, v0
	s_delay_alu instid0(VALU_DEP_2) | instskip(NEXT) | instid1(VALU_DEP_1)
	v_and_b32_e32 v2, 2, v2
	v_lshl_or_b32 v73, v1, 2, v2
	v_and_b32_e32 v1, 0xff, v36
	s_delay_alu instid0(VALU_DEP_1) | instskip(SKIP_3) | instid1(VALU_DEP_3)
	v_lshrrev_b32_e32 v2, s12, v1
	s_waitcnt lgkmcnt(0)
	v_add_nc_u16 v3, v58, 1
	v_bfe_u32 v1, v1, s12, 3
	v_lshrrev_b32_e32 v2, 2, v2
	ds_store_b16 v64, v3
	ds_load_u16 v62, v68
	v_mad_u32_u24 v1, v1, 6, v0
	v_and_b32_e32 v2, 2, v2
	s_delay_alu instid0(VALU_DEP_1) | instskip(SKIP_1) | instid1(VALU_DEP_1)
	v_lshl_or_b32 v75, v1, 2, v2
	v_and_b32_e32 v1, 0xff, v35
	v_lshrrev_b32_e32 v2, s12, v1
	v_bfe_u32 v1, v1, s12, 3
	s_delay_alu instid0(VALU_DEP_2) | instskip(SKIP_2) | instid1(VALU_DEP_3)
	v_lshrrev_b32_e32 v2, 2, v2
	s_waitcnt lgkmcnt(0)
	v_add_nc_u16 v3, v62, 1
	v_mad_u32_u24 v1, v1, 6, v0
	s_delay_alu instid0(VALU_DEP_3) | instskip(SKIP_4) | instid1(VALU_DEP_1)
	v_and_b32_e32 v2, 2, v2
	ds_store_b16 v68, v3
	ds_load_u16 v65, v71
	v_lshl_or_b32 v77, v1, 2, v2
	v_and_b32_e32 v1, 0xff, v34
	v_lshrrev_b32_e32 v2, s12, v1
	v_bfe_u32 v1, v1, s12, 3
	s_delay_alu instid0(VALU_DEP_2) | instskip(NEXT) | instid1(VALU_DEP_2)
	v_lshrrev_b32_e32 v2, 2, v2
	v_mad_u32_u24 v1, v1, 6, v0
	s_delay_alu instid0(VALU_DEP_2) | instskip(SKIP_2) | instid1(VALU_DEP_2)
	v_and_b32_e32 v2, 2, v2
	s_waitcnt lgkmcnt(0)
	v_add_nc_u16 v3, v65, 1
	v_lshl_or_b32 v79, v1, 2, v2
	ds_store_b16 v71, v3
	ds_load_u16 v66, v73
	v_and_b32_e32 v1, 0xff, v33
	s_delay_alu instid0(VALU_DEP_1) | instskip(SKIP_1) | instid1(VALU_DEP_2)
	v_lshrrev_b32_e32 v2, s12, v1
	v_bfe_u32 v1, v1, s12, 3
	v_lshrrev_b32_e32 v2, 2, v2
	s_delay_alu instid0(VALU_DEP_2) | instskip(NEXT) | instid1(VALU_DEP_2)
	v_mad_u32_u24 v1, v1, 6, v0
	v_and_b32_e32 v2, 2, v2
	s_waitcnt lgkmcnt(0)
	v_add_nc_u16 v3, v66, 1
	s_delay_alu instid0(VALU_DEP_2)
	v_lshl_or_b32 v81, v1, 2, v2
	v_and_b32_e32 v1, 0xff, v32
	ds_store_b16 v73, v3
	ds_load_u16 v70, v75
	v_lshrrev_b32_e32 v2, s12, v1
	v_bfe_u32 v1, v1, s12, 3
	s_delay_alu instid0(VALU_DEP_2) | instskip(NEXT) | instid1(VALU_DEP_2)
	v_lshrrev_b32_e32 v2, 2, v2
	v_mad_u32_u24 v1, v1, 6, v0
	s_delay_alu instid0(VALU_DEP_2) | instskip(NEXT) | instid1(VALU_DEP_1)
	v_and_b32_e32 v2, 2, v2
	v_lshl_or_b32 v82, v1, 2, v2
	v_and_b32_e32 v1, 0xff, v31
	s_waitcnt lgkmcnt(0)
	v_add_nc_u16 v3, v70, 1
	s_delay_alu instid0(VALU_DEP_2)
	v_lshrrev_b32_e32 v2, s12, v1
	v_bfe_u32 v1, v1, s12, 3
	ds_store_b16 v75, v3
	ds_load_u16 v72, v77
	v_lshrrev_b32_e32 v2, 2, v2
	v_mad_u32_u24 v1, v1, 6, v0
	s_delay_alu instid0(VALU_DEP_2) | instskip(NEXT) | instid1(VALU_DEP_1)
	v_and_b32_e32 v2, 2, v2
	v_lshl_or_b32 v83, v1, 2, v2
	v_and_b32_e32 v1, 0xff, v30
	s_delay_alu instid0(VALU_DEP_1) | instskip(SKIP_3) | instid1(VALU_DEP_3)
	v_lshrrev_b32_e32 v2, s12, v1
	v_bfe_u32 v1, v1, s12, 3
	s_waitcnt lgkmcnt(0)
	v_add_nc_u16 v3, v72, 1
	v_lshrrev_b32_e32 v2, 2, v2
	s_delay_alu instid0(VALU_DEP_3) | instskip(SKIP_3) | instid1(VALU_DEP_1)
	v_mad_u32_u24 v1, v1, 6, v0
	ds_store_b16 v77, v3
	ds_load_u16 v74, v79
	v_and_b32_e32 v2, 2, v2
	v_lshl_or_b32 v84, v1, 2, v2
	v_and_b32_e32 v1, 0xff, v29
	s_delay_alu instid0(VALU_DEP_1) | instskip(SKIP_1) | instid1(VALU_DEP_2)
	v_lshrrev_b32_e32 v2, s12, v1
	v_bfe_u32 v1, v1, s12, 3
	v_lshrrev_b32_e32 v2, 2, v2
	s_delay_alu instid0(VALU_DEP_2) | instskip(SKIP_2) | instid1(VALU_DEP_3)
	v_mad_u32_u24 v1, v1, 6, v0
	s_waitcnt lgkmcnt(0)
	v_add_nc_u16 v3, v74, 1
	v_and_b32_e32 v2, 2, v2
	ds_store_b16 v79, v3
	ds_load_u16 v76, v81
	v_lshl_or_b32 v85, v1, 2, v2
	v_and_b32_e32 v1, 0xff, v28
	s_delay_alu instid0(VALU_DEP_1) | instskip(SKIP_1) | instid1(VALU_DEP_2)
	v_lshrrev_b32_e32 v2, s12, v1
	v_bfe_u32 v1, v1, s12, 3
	v_lshrrev_b32_e32 v2, 2, v2
	s_delay_alu instid0(VALU_DEP_2) | instskip(NEXT) | instid1(VALU_DEP_2)
	v_mad_u32_u24 v1, v1, 6, v0
	v_and_b32_e32 v2, 2, v2
	s_waitcnt lgkmcnt(0)
	v_add_nc_u16 v3, v76, 1
	s_delay_alu instid0(VALU_DEP_2)
	v_lshl_or_b32 v86, v1, 2, v2
	v_and_b32_e32 v1, 0xff, v27
	ds_store_b16 v81, v3
	ds_load_u16 v78, v82
	v_lshrrev_b32_e32 v2, s12, v1
	v_bfe_u32 v1, v1, s12, 3
	s_delay_alu instid0(VALU_DEP_2) | instskip(NEXT) | instid1(VALU_DEP_2)
	v_lshrrev_b32_e32 v2, 2, v2
	v_mad_u32_u24 v1, v1, 6, v0
	s_delay_alu instid0(VALU_DEP_2) | instskip(NEXT) | instid1(VALU_DEP_1)
	v_and_b32_e32 v2, 2, v2
	v_lshl_or_b32 v101, v1, 2, v2
	v_and_b32_e32 v1, 0xff, v26
	s_waitcnt lgkmcnt(0)
	v_add_nc_u16 v3, v78, 1
	s_delay_alu instid0(VALU_DEP_2)
	v_lshrrev_b32_e32 v2, s12, v1
	v_bfe_u32 v1, v1, s12, 3
	ds_store_b16 v82, v3
	ds_load_u16 v80, v83
	v_lshrrev_b32_e32 v2, 2, v2
	v_mad_u32_u24 v1, v1, 6, v0
	s_delay_alu instid0(VALU_DEP_2) | instskip(NEXT) | instid1(VALU_DEP_1)
	v_and_b32_e32 v2, 2, v2
	v_lshl_or_b32 v102, v1, 2, v2
	v_and_b32_e32 v1, 0xff, v25
	s_delay_alu instid0(VALU_DEP_1) | instskip(SKIP_3) | instid1(VALU_DEP_3)
	v_lshrrev_b32_e32 v2, s12, v1
	v_bfe_u32 v1, v1, s12, 3
	s_waitcnt lgkmcnt(0)
	v_add_nc_u16 v3, v80, 1
	v_lshrrev_b32_e32 v2, 2, v2
	s_delay_alu instid0(VALU_DEP_3) | instskip(SKIP_3) | instid1(VALU_DEP_1)
	v_mad_u32_u24 v1, v1, 6, v0
	ds_store_b16 v83, v3
	ds_load_u16 v87, v84
	v_and_b32_e32 v2, 2, v2
	v_lshl_or_b32 v103, v1, 2, v2
	v_and_b32_e32 v1, 0xff, v24
	s_delay_alu instid0(VALU_DEP_1) | instskip(SKIP_1) | instid1(VALU_DEP_2)
	v_lshrrev_b32_e32 v2, s12, v1
	v_bfe_u32 v1, v1, s12, 3
	v_lshrrev_b32_e32 v2, 2, v2
	s_delay_alu instid0(VALU_DEP_2) | instskip(SKIP_2) | instid1(VALU_DEP_3)
	v_mad_u32_u24 v1, v1, 6, v0
	s_waitcnt lgkmcnt(0)
	v_add_nc_u16 v3, v87, 1
	v_and_b32_e32 v2, 2, v2
	ds_store_b16 v84, v3
	ds_load_u16 v88, v85
	v_lshl_or_b32 v104, v1, 2, v2
	v_and_b32_e32 v1, 0xff, v23
	s_delay_alu instid0(VALU_DEP_1) | instskip(SKIP_1) | instid1(VALU_DEP_2)
	v_lshrrev_b32_e32 v2, s12, v1
	v_bfe_u32 v1, v1, s12, 3
	v_lshrrev_b32_e32 v2, 2, v2
	s_delay_alu instid0(VALU_DEP_2) | instskip(NEXT) | instid1(VALU_DEP_2)
	v_mad_u32_u24 v1, v1, 6, v0
	v_and_b32_e32 v2, 2, v2
	s_waitcnt lgkmcnt(0)
	v_add_nc_u16 v3, v88, 1
	s_delay_alu instid0(VALU_DEP_2)
	v_lshl_or_b32 v105, v1, 2, v2
	v_and_b32_e32 v1, 0xff, v22
	ds_store_b16 v85, v3
	ds_load_u16 v89, v86
	v_lshrrev_b32_e32 v2, s12, v1
	v_bfe_u32 v1, v1, s12, 3
	s_delay_alu instid0(VALU_DEP_2) | instskip(NEXT) | instid1(VALU_DEP_2)
	v_lshrrev_b32_e32 v2, 2, v2
	v_mad_u32_u24 v1, v1, 6, v0
	s_delay_alu instid0(VALU_DEP_2) | instskip(NEXT) | instid1(VALU_DEP_1)
	v_and_b32_e32 v2, 2, v2
	v_lshl_or_b32 v106, v1, 2, v2
	v_and_b32_e32 v1, 0xff, v21
	s_waitcnt lgkmcnt(0)
	v_add_nc_u16 v3, v89, 1
	s_delay_alu instid0(VALU_DEP_2) | instskip(SKIP_4) | instid1(VALU_DEP_2)
	v_lshrrev_b32_e32 v2, s12, v1
	ds_store_b16 v86, v3
	ds_load_u16 v90, v101
	v_bfe_u32 v1, v1, s12, 3
	v_lshrrev_b32_e32 v2, 2, v2
	v_mad_u32_u24 v1, v1, 6, v0
	s_delay_alu instid0(VALU_DEP_2) | instskip(NEXT) | instid1(VALU_DEP_1)
	v_and_b32_e32 v2, 2, v2
	v_lshl_or_b32 v107, v1, 2, v2
	v_and_b32_e32 v1, 0xff, v20
	s_delay_alu instid0(VALU_DEP_1) | instskip(SKIP_3) | instid1(VALU_DEP_3)
	v_lshrrev_b32_e32 v2, s12, v1
	s_waitcnt lgkmcnt(0)
	v_add_nc_u16 v3, v90, 1
	v_bfe_u32 v1, v1, s12, 3
	v_lshrrev_b32_e32 v2, 2, v2
	ds_store_b16 v101, v3
	ds_load_u16 v91, v102
	v_mad_u32_u24 v1, v1, 6, v0
	v_and_b32_e32 v2, 2, v2
	s_delay_alu instid0(VALU_DEP_1) | instskip(SKIP_1) | instid1(VALU_DEP_1)
	v_lshl_or_b32 v108, v1, 2, v2
	v_and_b32_e32 v1, 0xff, v19
	v_lshrrev_b32_e32 v2, s12, v1
	v_bfe_u32 v1, v1, s12, 3
	s_delay_alu instid0(VALU_DEP_2) | instskip(SKIP_2) | instid1(VALU_DEP_3)
	v_lshrrev_b32_e32 v2, 2, v2
	s_waitcnt lgkmcnt(0)
	v_add_nc_u16 v3, v91, 1
	v_mad_u32_u24 v1, v1, 6, v0
	s_delay_alu instid0(VALU_DEP_3) | instskip(SKIP_4) | instid1(VALU_DEP_1)
	v_and_b32_e32 v2, 2, v2
	ds_store_b16 v102, v3
	ds_load_u16 v92, v103
	v_lshl_or_b32 v109, v1, 2, v2
	v_and_b32_e32 v1, 0xff, v18
	v_lshrrev_b32_e32 v2, s12, v1
	v_bfe_u32 v1, v1, s12, 3
	s_delay_alu instid0(VALU_DEP_2) | instskip(NEXT) | instid1(VALU_DEP_2)
	v_lshrrev_b32_e32 v2, 2, v2
	v_mad_u32_u24 v1, v1, 6, v0
	s_delay_alu instid0(VALU_DEP_2) | instskip(SKIP_2) | instid1(VALU_DEP_2)
	v_and_b32_e32 v2, 2, v2
	s_waitcnt lgkmcnt(0)
	v_add_nc_u16 v3, v92, 1
	v_lshl_or_b32 v110, v1, 2, v2
	ds_store_b16 v103, v3
	ds_load_u16 v93, v104
	s_waitcnt lgkmcnt(0)
	v_add_nc_u16 v3, v93, 1
	ds_store_b16 v104, v3
	ds_load_u16 v94, v105
	s_waitcnt lgkmcnt(0)
	v_add_nc_u16 v3, v94, 1
	;; [unrolled: 4-line block ×7, first 2 shown]
	ds_store_b16 v110, v1
	s_waitcnt vmcnt(0) lgkmcnt(0)
	s_waitcnt_vscnt null, 0x0
	; wave barrier
	s_waitcnt lgkmcnt(0)
	buffer_gl0_inv
	ds_load_2addr_b32 v[7:8], v13 offset1:1
	ds_load_2addr_b32 v[5:6], v13 offset0:2 offset1:3
	ds_load_2addr_b32 v[3:4], v13 offset0:4 offset1:5
	;; [unrolled: 1-line block ×3, first 2 shown]
	s_waitcnt lgkmcnt(3)
	v_add_nc_u32_e32 v100, v8, v7
	s_waitcnt lgkmcnt(2)
	s_delay_alu instid0(VALU_DEP_1) | instskip(SKIP_1) | instid1(VALU_DEP_1)
	v_add3_u32 v100, v100, v5, v6
	s_waitcnt lgkmcnt(1)
	v_add3_u32 v100, v100, v3, v4
	s_waitcnt lgkmcnt(0)
	s_delay_alu instid0(VALU_DEP_1) | instskip(NEXT) | instid1(VALU_DEP_1)
	v_add3_u32 v2, v100, v1, v2
	v_mov_b32_dpp v100, v2 row_shr:1 row_mask:0xf bank_mask:0xf
	s_delay_alu instid0(VALU_DEP_1) | instskip(NEXT) | instid1(VALU_DEP_1)
	v_cndmask_b32_e64 v100, v100, 0, s4
	v_add_nc_u32_e32 v2, v100, v2
	s_delay_alu instid0(VALU_DEP_1) | instskip(NEXT) | instid1(VALU_DEP_1)
	v_mov_b32_dpp v100, v2 row_shr:2 row_mask:0xf bank_mask:0xf
	v_cndmask_b32_e64 v100, 0, v100, s5
	s_delay_alu instid0(VALU_DEP_1) | instskip(NEXT) | instid1(VALU_DEP_1)
	v_add_nc_u32_e32 v2, v2, v100
	v_mov_b32_dpp v100, v2 row_shr:4 row_mask:0xf bank_mask:0xf
	s_delay_alu instid0(VALU_DEP_1) | instskip(NEXT) | instid1(VALU_DEP_1)
	v_cndmask_b32_e64 v100, 0, v100, s6
	v_add_nc_u32_e32 v2, v2, v100
	s_and_saveexec_b32 s12, s7
	s_cbranch_execz .LBB9_11
; %bb.10:                               ;   in Loop: Header=BB9_6 Depth=1
	ds_store_b32 v17, v2 offset:192
.LBB9_11:                               ;   in Loop: Header=BB9_6 Depth=1
	s_or_b32 exec_lo, exec_lo, s12
	ds_bpermute_b32 v2, v15, v2
	s_waitcnt vmcnt(0) lgkmcnt(0)
	s_waitcnt_vscnt null, 0x0
	; wave barrier
	s_waitcnt lgkmcnt(0)
	buffer_gl0_inv
	ds_load_b32 v100, v17 offset:192
	v_and_b32_e32 v114, 0xffff, v90
	v_and_b32_e32 v115, 0xffff, v91
	;; [unrolled: 1-line block ×16, first 2 shown]
	v_cndmask_b32_e64 v2, v2, 0, s8
	v_and_b32_e32 v89, 0xffff, v54
	v_and_b32_e32 v88, 0xffff, v56
	;; [unrolled: 1-line block ×4, first 2 shown]
	s_waitcnt lgkmcnt(0)
	v_lshl_add_u32 v2, v100, 16, v2
	v_and_b32_e32 v54, 0xffff, v67
	v_and_b32_e32 v56, 0xffff, v69
	;; [unrolled: 1-line block ×4, first 2 shown]
	v_add_nc_u32_e32 v7, v2, v7
	s_and_not1_b32 vcc_lo, exec_lo, s9
	s_delay_alu instid0(VALU_DEP_1) | instskip(NEXT) | instid1(VALU_DEP_1)
	v_add_nc_u32_e32 v8, v7, v8
	v_add_nc_u32_e32 v5, v8, v5
	s_delay_alu instid0(VALU_DEP_1) | instskip(NEXT) | instid1(VALU_DEP_1)
	v_add_nc_u32_e32 v6, v5, v6
	v_add_nc_u32_e32 v3, v6, v3
	;; [unrolled: 3-line block ×3, first 2 shown]
	ds_store_2addr_b32 v13, v2, v7 offset1:1
	ds_store_2addr_b32 v13, v8, v5 offset0:2 offset1:3
	ds_store_2addr_b32 v13, v6, v3 offset0:4 offset1:5
	;; [unrolled: 1-line block ×3, first 2 shown]
	s_waitcnt vmcnt(0) lgkmcnt(0)
	s_waitcnt_vscnt null, 0x0
	; wave barrier
	s_waitcnt lgkmcnt(0)
	buffer_gl0_inv
	ds_load_u16 v100, v9
	ds_load_u16 v99, v10
	;; [unrolled: 1-line block ×32, first 2 shown]
	s_waitcnt lgkmcnt(20)
	v_add_nc_u32_e32 v53, v1, v111
	s_waitcnt lgkmcnt(19)
	v_add_nc_u32_e32 v55, v2, v112
	;; [unrolled: 2-line block ×13, first 2 shown]
	v_and_b32_e32 v102, 0xffff, v58
	v_and_b32_e32 v79, 0xffff, v62
	;; [unrolled: 1-line block ×8, first 2 shown]
	s_waitcnt lgkmcnt(0)
	s_cbranch_vccz .LBB9_5
; %bb.12:
	s_mov_b32 s9, -1
                                        ; implicit-def: $sgpr12
                                        ; implicit-def: $vgpr1
                                        ; implicit-def: $vgpr74
                                        ; implicit-def: $vgpr76
                                        ; implicit-def: $vgpr9
                                        ; implicit-def: $vgpr78
                                        ; implicit-def: $vgpr80
                                        ; implicit-def: $vgpr105
                                        ; implicit-def: $vgpr106
                                        ; implicit-def: $vgpr107
                                        ; implicit-def: $vgpr10
                                        ; implicit-def: $vgpr108
                                        ; implicit-def: $vgpr109
                                        ; implicit-def: $vgpr110
                                        ; implicit-def: $vgpr5
                                        ; implicit-def: $vgpr111
                                        ; implicit-def: $vgpr112
                                        ; implicit-def: $vgpr11
                                        ; implicit-def: $vgpr113
                                        ; implicit-def: $vgpr114
                                        ; implicit-def: $vgpr115
                                        ; implicit-def: $vgpr116
                                        ; implicit-def: $vgpr117
                                        ; implicit-def: $vgpr12
                                        ; implicit-def: $vgpr118
                                        ; implicit-def: $vgpr119
                                        ; implicit-def: $vgpr120
.LBB9_13:
	v_add_nc_u32_e32 v1, v100, v92
	v_add_nc_u32_e32 v2, v99, v91
	;; [unrolled: 1-line block ×4, first 2 shown]
	; wave barrier
	buffer_gl0_inv
	ds_store_b8 v1, v49
	ds_store_b8 v2, v48
	ds_store_b8 v3, v47
	ds_store_b8 v4, v46
	v_add_nc_u32_e32 v1, v96, v88
	v_add_nc_u32_e32 v2, v95, v87
	v_add_nc_u32_e32 v3, v94, v59
	v_add_nc_u32_e32 v4, v93, v54
	v_add_nc_u32_e32 v5, v101, v56
	ds_store_b8 v1, v45
	ds_store_b8 v2, v44
	ds_store_b8 v3, v43
	ds_store_b8 v4, v42
	ds_store_b8 v5, v41
	v_add_nc_u32_e32 v1, v86, v102
	v_add_nc_u32_e32 v2, v85, v79
	v_add_nc_u32_e32 v3, v84, v65
	v_add_nc_u32_e32 v4, v83, v104
	v_add_nc_u32_e32 v5, v82, v103
	ds_store_b8 v1, v40
	ds_store_b8 v2, v39
	ds_store_b8 v3, v38
	ds_store_b8 v4, v37
	ds_store_b8 v5, v36
	v_add_nc_u32_e32 v1, v81, v72
	v_add_nc_u32_e32 v2, v77, v66
	v_add_nc_u32_e32 v3, v52, v70
	v_add_nc_u32_e32 v4, v51, v62
	v_add_nc_u32_e32 v5, v50, v58
	ds_store_b8 v1, v35
	ds_store_b8 v2, v34
	ds_store_b8 v3, v33
	;; [unrolled: 1-line block ×17, first 2 shown]
	s_waitcnt vmcnt(0) lgkmcnt(0)
	s_waitcnt_vscnt null, 0x0
	; wave barrier
	s_waitcnt lgkmcnt(0)
	buffer_gl0_inv
	ds_load_b128 v[1:4], v13
	ds_load_b128 v[5:8], v13 offset:16
	s_waitcnt vmcnt(0) lgkmcnt(0)
	s_waitcnt_vscnt null, 0x0
	; wave barrier
	s_waitcnt lgkmcnt(0)
	buffer_gl0_inv
	s_and_saveexec_b32 s3, s2
	s_cbranch_execz .LBB9_16
; %bb.14:
	v_dual_mov_b32 v10, 0xc0 :: v_dual_add_nc_u32 v9, 12, v14
	v_mov_b32_e32 v11, v0
	s_mov_b32 s4, 0
.LBB9_15:                               ; =>This Inner Loop Header: Depth=1
	s_delay_alu instid0(VALU_DEP_1) | instskip(SKIP_4) | instid1(SALU_CYCLE_1)
	v_add_nc_u32_e32 v11, 6, v11
	ds_store_2addr_b32 v9, v10, v10 offset1:18
	v_add_nc_u32_e32 v9, 24, v9
	v_cmp_lt_u32_e32 vcc_lo, 17, v11
	s_or_b32 s4, vcc_lo, s4
	s_and_not1_b32 exec_lo, exec_lo, s4
	s_cbranch_execnz .LBB9_15
.LBB9_16:
	s_or_b32 exec_lo, exec_lo, s3
	v_lshrrev_b32_e32 v9, 16, v8
	v_lshrrev_b32_e32 v10, 24, v8
	s_mov_b32 s3, exec_lo
	s_waitcnt vmcnt(0) lgkmcnt(0)
	s_waitcnt_vscnt null, 0x0
	; wave barrier
	s_waitcnt lgkmcnt(0)
	buffer_gl0_inv
	v_and_b32_e32 v9, 0xff, v9
	ds_store_b8 v0, v10
	v_cmpx_ne_u16_e64 v9, v10
	s_cbranch_execz .LBB9_18
; %bb.17:
	v_and_b32_e32 v10, 0xffff, v10
	v_or_b32_e32 v11, 31, v13
	v_lshlrev_b32_e32 v12, 2, v9
	s_delay_alu instid0(VALU_DEP_3)
	v_lshlrev_b32_e32 v10, 2, v10
	ds_store_b32 v10, v11 offset:12
	ds_store_b32 v12, v11 offset:84
.LBB9_18:
	s_or_b32 exec_lo, exec_lo, s3
	v_lshrrev_b32_e32 v10, 8, v8
	s_mov_b32 s3, exec_lo
	s_delay_alu instid0(VALU_DEP_1) | instskip(NEXT) | instid1(VALU_DEP_1)
	v_and_b32_e32 v10, 0xff, v10
	v_cmpx_ne_u16_e64 v10, v9
	s_cbranch_execz .LBB9_20
; %bb.19:
	v_or_b32_e32 v11, 30, v13
	v_lshlrev_b32_e32 v9, 2, v9
	v_lshlrev_b32_e32 v12, 2, v10
	ds_store_b32 v9, v11 offset:12
	ds_store_b32 v12, v11 offset:84
.LBB9_20:
	s_or_b32 exec_lo, exec_lo, s3
	v_and_b32_e32 v9, 0xff, v8
	s_mov_b32 s3, exec_lo
	s_delay_alu instid0(VALU_DEP_1)
	v_cmpx_ne_u16_e64 v9, v10
	s_cbranch_execz .LBB9_22
; %bb.21:
	v_or_b32_e32 v11, 29, v13
	v_lshlrev_b32_e32 v10, 2, v10
	v_lshlrev_b32_e32 v12, 2, v9
	ds_store_b32 v10, v11 offset:12
	ds_store_b32 v12, v11 offset:84
.LBB9_22:
	s_or_b32 exec_lo, exec_lo, s3
	v_lshrrev_b64 v[10:11], 24, v[7:8]
	s_mov_b32 s3, exec_lo
	s_delay_alu instid0(VALU_DEP_1) | instskip(NEXT) | instid1(VALU_DEP_1)
	v_and_b32_e32 v8, 0xff, v10
	v_cmpx_ne_u16_e64 v8, v9
	s_cbranch_execz .LBB9_24
; %bb.23:
	v_or_b32_e32 v10, 28, v13
	v_lshlrev_b32_e32 v9, 2, v9
	v_lshlrev_b32_e32 v11, 2, v8
	ds_store_b32 v9, v10 offset:12
	ds_store_b32 v11, v10 offset:84
.LBB9_24:
	s_or_b32 exec_lo, exec_lo, s3
	v_lshrrev_b32_e32 v9, 16, v7
	s_mov_b32 s3, exec_lo
	s_delay_alu instid0(VALU_DEP_1) | instskip(NEXT) | instid1(VALU_DEP_1)
	v_and_b32_e32 v9, 0xff, v9
	v_cmpx_ne_u16_e64 v9, v8
	s_cbranch_execz .LBB9_26
; %bb.25:
	v_or_b32_e32 v10, 27, v13
	v_lshlrev_b32_e32 v8, 2, v8
	v_lshlrev_b32_e32 v11, 2, v9
	ds_store_b32 v8, v10 offset:12
	ds_store_b32 v11, v10 offset:84
.LBB9_26:
	s_or_b32 exec_lo, exec_lo, s3
	v_lshrrev_b32_e32 v8, 8, v7
	s_mov_b32 s3, exec_lo
	s_delay_alu instid0(VALU_DEP_1) | instskip(NEXT) | instid1(VALU_DEP_1)
	v_and_b32_e32 v8, 0xff, v8
	v_cmpx_ne_u16_e64 v8, v9
	s_cbranch_execz .LBB9_28
; %bb.27:
	v_or_b32_e32 v10, 26, v13
	v_lshlrev_b32_e32 v9, 2, v9
	v_lshlrev_b32_e32 v11, 2, v8
	ds_store_b32 v9, v10 offset:12
	ds_store_b32 v11, v10 offset:84
.LBB9_28:
	s_or_b32 exec_lo, exec_lo, s3
	v_and_b32_e32 v7, 0xff, v7
	s_mov_b32 s3, exec_lo
	s_delay_alu instid0(VALU_DEP_1)
	v_cmpx_ne_u16_e64 v7, v8
	s_cbranch_execz .LBB9_30
; %bb.29:
	v_or_b32_e32 v9, 25, v13
	v_lshlrev_b32_e32 v8, 2, v8
	v_lshlrev_b32_e32 v10, 2, v7
	ds_store_b32 v8, v9 offset:12
	ds_store_b32 v10, v9 offset:84
.LBB9_30:
	s_or_b32 exec_lo, exec_lo, s3
	v_lshrrev_b32_e32 v9, 24, v6
	s_mov_b32 s3, exec_lo
	s_delay_alu instid0(VALU_DEP_1)
	v_and_b32_e32 v8, 0xffff, v9
	v_cmpx_ne_u16_e64 v9, v7
	s_cbranch_execz .LBB9_32
; %bb.31:
	v_or_b32_e32 v10, 24, v13
	v_lshlrev_b32_e32 v7, 2, v7
	v_lshlrev_b32_e32 v11, 2, v8
	ds_store_b32 v7, v10 offset:12
	ds_store_b32 v11, v10 offset:84
.LBB9_32:
	s_or_b32 exec_lo, exec_lo, s3
	v_lshrrev_b32_e32 v7, 16, v6
	s_mov_b32 s3, exec_lo
	s_delay_alu instid0(VALU_DEP_1) | instskip(NEXT) | instid1(VALU_DEP_1)
	v_and_b32_e32 v7, 0xff, v7
	v_cmpx_ne_u16_e64 v7, v9
	s_cbranch_execz .LBB9_34
; %bb.33:
	v_or_b32_e32 v9, 23, v13
	v_lshlrev_b32_e32 v8, 2, v8
	v_lshlrev_b32_e32 v10, 2, v7
	ds_store_b32 v8, v9 offset:12
	ds_store_b32 v10, v9 offset:84
.LBB9_34:
	s_or_b32 exec_lo, exec_lo, s3
	v_lshrrev_b32_e32 v8, 8, v6
	s_mov_b32 s3, exec_lo
	s_delay_alu instid0(VALU_DEP_1) | instskip(NEXT) | instid1(VALU_DEP_1)
	v_and_b32_e32 v8, 0xff, v8
	v_cmpx_ne_u16_e64 v8, v7
	s_cbranch_execz .LBB9_36
; %bb.35:
	v_or_b32_e32 v9, 22, v13
	v_lshlrev_b32_e32 v7, 2, v7
	v_lshlrev_b32_e32 v10, 2, v8
	ds_store_b32 v7, v9 offset:12
	ds_store_b32 v10, v9 offset:84
.LBB9_36:
	s_or_b32 exec_lo, exec_lo, s3
	v_and_b32_e32 v7, 0xff, v6
	s_mov_b32 s3, exec_lo
	s_delay_alu instid0(VALU_DEP_1)
	v_cmpx_ne_u16_e64 v7, v8
	s_cbranch_execz .LBB9_38
; %bb.37:
	v_or_b32_e32 v9, 21, v13
	v_lshlrev_b32_e32 v8, 2, v8
	v_lshlrev_b32_e32 v10, 2, v7
	ds_store_b32 v8, v9 offset:12
	ds_store_b32 v10, v9 offset:84
.LBB9_38:
	s_or_b32 exec_lo, exec_lo, s3
	v_lshrrev_b64 v[8:9], 24, v[5:6]
	s_mov_b32 s3, exec_lo
	s_delay_alu instid0(VALU_DEP_1) | instskip(NEXT) | instid1(VALU_DEP_1)
	v_and_b32_e32 v6, 0xff, v8
	v_cmpx_ne_u16_e64 v6, v7
	s_cbranch_execz .LBB9_40
; %bb.39:
	v_or_b32_e32 v8, 20, v13
	v_lshlrev_b32_e32 v7, 2, v7
	v_lshlrev_b32_e32 v9, 2, v6
	ds_store_b32 v7, v8 offset:12
	ds_store_b32 v9, v8 offset:84
.LBB9_40:
	s_or_b32 exec_lo, exec_lo, s3
	v_lshrrev_b32_e32 v7, 16, v5
	s_mov_b32 s3, exec_lo
	s_delay_alu instid0(VALU_DEP_1) | instskip(NEXT) | instid1(VALU_DEP_1)
	v_and_b32_e32 v7, 0xff, v7
	v_cmpx_ne_u16_e64 v7, v6
	s_cbranch_execz .LBB9_42
; %bb.41:
	v_or_b32_e32 v8, 19, v13
	v_lshlrev_b32_e32 v6, 2, v6
	v_lshlrev_b32_e32 v9, 2, v7
	ds_store_b32 v6, v8 offset:12
	ds_store_b32 v9, v8 offset:84
.LBB9_42:
	s_or_b32 exec_lo, exec_lo, s3
	v_lshrrev_b32_e32 v6, 8, v5
	s_mov_b32 s3, exec_lo
	s_delay_alu instid0(VALU_DEP_1) | instskip(NEXT) | instid1(VALU_DEP_1)
	v_and_b32_e32 v6, 0xff, v6
	v_cmpx_ne_u16_e64 v6, v7
	s_cbranch_execz .LBB9_44
; %bb.43:
	v_or_b32_e32 v8, 18, v13
	v_lshlrev_b32_e32 v7, 2, v7
	v_lshlrev_b32_e32 v9, 2, v6
	ds_store_b32 v7, v8 offset:12
	ds_store_b32 v9, v8 offset:84
.LBB9_44:
	s_or_b32 exec_lo, exec_lo, s3
	v_and_b32_e32 v5, 0xff, v5
	s_mov_b32 s3, exec_lo
	s_delay_alu instid0(VALU_DEP_1)
	v_cmpx_ne_u16_e64 v5, v6
	s_cbranch_execz .LBB9_46
; %bb.45:
	v_or_b32_e32 v7, 17, v13
	v_lshlrev_b32_e32 v6, 2, v6
	v_lshlrev_b32_e32 v8, 2, v5
	ds_store_b32 v6, v7 offset:12
	ds_store_b32 v8, v7 offset:84
.LBB9_46:
	s_or_b32 exec_lo, exec_lo, s3
	v_lshrrev_b32_e32 v7, 24, v4
	s_mov_b32 s3, exec_lo
	s_delay_alu instid0(VALU_DEP_1)
	v_and_b32_e32 v6, 0xffff, v7
	v_cmpx_ne_u16_e64 v7, v5
	s_cbranch_execz .LBB9_48
; %bb.47:
	v_or_b32_e32 v8, 16, v13
	v_lshlrev_b32_e32 v5, 2, v5
	v_lshlrev_b32_e32 v9, 2, v6
	ds_store_b32 v5, v8 offset:12
	ds_store_b32 v9, v8 offset:84
.LBB9_48:
	s_or_b32 exec_lo, exec_lo, s3
	v_lshrrev_b32_e32 v5, 16, v4
	s_mov_b32 s3, exec_lo
	s_delay_alu instid0(VALU_DEP_1) | instskip(NEXT) | instid1(VALU_DEP_1)
	v_and_b32_e32 v5, 0xff, v5
	v_cmpx_ne_u16_e64 v5, v7
	s_cbranch_execz .LBB9_50
; %bb.49:
	v_or_b32_e32 v7, 15, v13
	v_lshlrev_b32_e32 v6, 2, v6
	v_lshlrev_b32_e32 v8, 2, v5
	ds_store_b32 v6, v7 offset:12
	ds_store_b32 v8, v7 offset:84
.LBB9_50:
	s_or_b32 exec_lo, exec_lo, s3
	v_lshrrev_b32_e32 v6, 8, v4
	s_mov_b32 s3, exec_lo
	s_delay_alu instid0(VALU_DEP_1) | instskip(NEXT) | instid1(VALU_DEP_1)
	v_and_b32_e32 v6, 0xff, v6
	v_cmpx_ne_u16_e64 v6, v5
	s_cbranch_execz .LBB9_52
; %bb.51:
	v_or_b32_e32 v7, 14, v13
	v_lshlrev_b32_e32 v5, 2, v5
	v_lshlrev_b32_e32 v8, 2, v6
	ds_store_b32 v5, v7 offset:12
	ds_store_b32 v8, v7 offset:84
.LBB9_52:
	s_or_b32 exec_lo, exec_lo, s3
	v_and_b32_e32 v5, 0xff, v4
	s_mov_b32 s3, exec_lo
	s_delay_alu instid0(VALU_DEP_1)
	v_cmpx_ne_u16_e64 v5, v6
	s_cbranch_execz .LBB9_54
; %bb.53:
	v_or_b32_e32 v7, 13, v13
	v_lshlrev_b32_e32 v6, 2, v6
	v_lshlrev_b32_e32 v8, 2, v5
	ds_store_b32 v6, v7 offset:12
	ds_store_b32 v8, v7 offset:84
.LBB9_54:
	s_or_b32 exec_lo, exec_lo, s3
	v_lshrrev_b64 v[6:7], 24, v[3:4]
	s_mov_b32 s3, exec_lo
	s_delay_alu instid0(VALU_DEP_1) | instskip(NEXT) | instid1(VALU_DEP_1)
	v_and_b32_e32 v4, 0xff, v6
	v_cmpx_ne_u16_e64 v4, v5
	s_cbranch_execz .LBB9_56
; %bb.55:
	v_or_b32_e32 v6, 12, v13
	v_lshlrev_b32_e32 v5, 2, v5
	v_lshlrev_b32_e32 v7, 2, v4
	ds_store_b32 v5, v6 offset:12
	ds_store_b32 v7, v6 offset:84
.LBB9_56:
	s_or_b32 exec_lo, exec_lo, s3
	v_lshrrev_b32_e32 v5, 16, v3
	s_mov_b32 s3, exec_lo
	s_delay_alu instid0(VALU_DEP_1) | instskip(NEXT) | instid1(VALU_DEP_1)
	v_and_b32_e32 v5, 0xff, v5
	v_cmpx_ne_u16_e64 v5, v4
	s_cbranch_execz .LBB9_58
; %bb.57:
	v_or_b32_e32 v6, 11, v13
	v_lshlrev_b32_e32 v4, 2, v4
	v_lshlrev_b32_e32 v7, 2, v5
	ds_store_b32 v4, v6 offset:12
	ds_store_b32 v7, v6 offset:84
.LBB9_58:
	s_or_b32 exec_lo, exec_lo, s3
	v_lshrrev_b32_e32 v4, 8, v3
	s_mov_b32 s3, exec_lo
	s_delay_alu instid0(VALU_DEP_1) | instskip(NEXT) | instid1(VALU_DEP_1)
	v_and_b32_e32 v4, 0xff, v4
	v_cmpx_ne_u16_e64 v4, v5
	s_cbranch_execz .LBB9_60
; %bb.59:
	v_or_b32_e32 v6, 10, v13
	v_lshlrev_b32_e32 v5, 2, v5
	v_lshlrev_b32_e32 v7, 2, v4
	ds_store_b32 v5, v6 offset:12
	ds_store_b32 v7, v6 offset:84
.LBB9_60:
	s_or_b32 exec_lo, exec_lo, s3
	v_and_b32_e32 v3, 0xff, v3
	s_mov_b32 s3, exec_lo
	s_delay_alu instid0(VALU_DEP_1)
	v_cmpx_ne_u16_e64 v3, v4
	s_cbranch_execz .LBB9_62
; %bb.61:
	v_or_b32_e32 v5, 9, v13
	v_lshlrev_b32_e32 v4, 2, v4
	v_lshlrev_b32_e32 v6, 2, v3
	ds_store_b32 v4, v5 offset:12
	ds_store_b32 v6, v5 offset:84
.LBB9_62:
	s_or_b32 exec_lo, exec_lo, s3
	v_lshrrev_b32_e32 v5, 24, v2
	s_mov_b32 s3, exec_lo
	s_delay_alu instid0(VALU_DEP_1)
	v_and_b32_e32 v4, 0xffff, v5
	v_cmpx_ne_u16_e64 v5, v3
	s_cbranch_execz .LBB9_64
; %bb.63:
	v_or_b32_e32 v6, 8, v13
	v_lshlrev_b32_e32 v3, 2, v3
	v_lshlrev_b32_e32 v7, 2, v4
	ds_store_b32 v3, v6 offset:12
	ds_store_b32 v7, v6 offset:84
.LBB9_64:
	s_or_b32 exec_lo, exec_lo, s3
	v_lshrrev_b32_e32 v3, 16, v2
	s_mov_b32 s3, exec_lo
	s_delay_alu instid0(VALU_DEP_1) | instskip(NEXT) | instid1(VALU_DEP_1)
	v_and_b32_e32 v3, 0xff, v3
	v_cmpx_ne_u16_e64 v3, v5
	s_cbranch_execz .LBB9_66
; %bb.65:
	v_or_b32_e32 v5, 7, v13
	v_lshlrev_b32_e32 v4, 2, v4
	v_lshlrev_b32_e32 v6, 2, v3
	ds_store_b32 v4, v5 offset:12
	ds_store_b32 v6, v5 offset:84
.LBB9_66:
	s_or_b32 exec_lo, exec_lo, s3
	v_lshrrev_b32_e32 v4, 8, v2
	s_mov_b32 s3, exec_lo
	s_delay_alu instid0(VALU_DEP_1) | instskip(NEXT) | instid1(VALU_DEP_1)
	v_and_b32_e32 v4, 0xff, v4
	v_cmpx_ne_u16_e64 v4, v3
	s_cbranch_execz .LBB9_68
; %bb.67:
	v_or_b32_e32 v5, 6, v13
	v_lshlrev_b32_e32 v3, 2, v3
	v_lshlrev_b32_e32 v6, 2, v4
	ds_store_b32 v3, v5 offset:12
	ds_store_b32 v6, v5 offset:84
.LBB9_68:
	s_or_b32 exec_lo, exec_lo, s3
	v_and_b32_e32 v3, 0xff, v2
	s_mov_b32 s3, exec_lo
	s_delay_alu instid0(VALU_DEP_1)
	v_cmpx_ne_u16_e64 v3, v4
	s_cbranch_execz .LBB9_70
; %bb.69:
	v_or_b32_e32 v5, 5, v13
	v_lshlrev_b32_e32 v4, 2, v4
	v_lshlrev_b32_e32 v6, 2, v3
	ds_store_b32 v4, v5 offset:12
	ds_store_b32 v6, v5 offset:84
.LBB9_70:
	s_or_b32 exec_lo, exec_lo, s3
	v_lshrrev_b64 v[4:5], 24, v[1:2]
	s_mov_b32 s3, exec_lo
	s_delay_alu instid0(VALU_DEP_1) | instskip(NEXT) | instid1(VALU_DEP_1)
	v_and_b32_e32 v2, 0xff, v4
	v_cmpx_ne_u16_e64 v2, v3
	s_cbranch_execz .LBB9_72
; %bb.71:
	v_or_b32_e32 v4, 4, v13
	v_lshlrev_b32_e32 v3, 2, v3
	v_lshlrev_b32_e32 v5, 2, v2
	ds_store_b32 v3, v4 offset:12
	ds_store_b32 v5, v4 offset:84
.LBB9_72:
	s_or_b32 exec_lo, exec_lo, s3
	v_lshrrev_b32_e32 v3, 16, v1
	s_mov_b32 s3, exec_lo
	s_delay_alu instid0(VALU_DEP_1) | instskip(NEXT) | instid1(VALU_DEP_1)
	v_and_b32_e32 v3, 0xff, v3
	v_cmpx_ne_u16_e64 v3, v2
	s_cbranch_execz .LBB9_74
; %bb.73:
	v_or_b32_e32 v4, 3, v13
	v_lshlrev_b32_e32 v2, 2, v2
	v_lshlrev_b32_e32 v5, 2, v3
	ds_store_b32 v2, v4 offset:12
	ds_store_b32 v5, v4 offset:84
.LBB9_74:
	s_or_b32 exec_lo, exec_lo, s3
	v_lshrrev_b32_e32 v2, 8, v1
	s_mov_b32 s3, exec_lo
	s_delay_alu instid0(VALU_DEP_1) | instskip(NEXT) | instid1(VALU_DEP_1)
	v_and_b32_e32 v2, 0xff, v2
	v_cmpx_ne_u16_e64 v2, v3
	s_cbranch_execz .LBB9_76
; %bb.75:
	v_or_b32_e32 v4, 2, v13
	v_lshlrev_b32_e32 v3, 2, v3
	v_lshlrev_b32_e32 v5, 2, v2
	ds_store_b32 v3, v4 offset:12
	ds_store_b32 v5, v4 offset:84
.LBB9_76:
	s_or_b32 exec_lo, exec_lo, s3
	v_and_b32_e32 v1, 0xff, v1
	s_mov_b32 s3, exec_lo
	s_delay_alu instid0(VALU_DEP_1)
	v_cmpx_ne_u16_e64 v1, v2
	s_cbranch_execz .LBB9_78
; %bb.77:
	v_or_b32_e32 v3, 1, v13
	v_lshlrev_b32_e32 v2, 2, v2
	v_lshlrev_b32_e32 v4, 2, v1
	ds_store_b32 v2, v3 offset:12
	ds_store_b32 v4, v3 offset:84
.LBB9_78:
	s_or_b32 exec_lo, exec_lo, s3
	v_cmp_eq_u32_e32 vcc_lo, 0, v0
	s_mov_b32 s4, exec_lo
	s_waitcnt vmcnt(0) lgkmcnt(0)
	s_waitcnt_vscnt null, 0x0
	; wave barrier
	s_waitcnt lgkmcnt(0)
	buffer_gl0_inv
	v_cmpx_ne_u32_e32 0, v0
	s_cbranch_execz .LBB9_81
; %bb.79:
	v_add_nc_u32_e32 v2, -1, v0
	ds_load_u8 v3, v2
	s_waitcnt lgkmcnt(0)
	v_cmp_ne_u16_e64 s3, v3, v1
	s_delay_alu instid0(VALU_DEP_1)
	s_and_b32 exec_lo, exec_lo, s3
	s_cbranch_execz .LBB9_81
; %bb.80:
	v_lshlrev_b32_e32 v3, 2, v1
	ds_store_b32 v3, v13 offset:12
	ds_load_u8 v2, v2
	s_waitcnt lgkmcnt(0)
	v_lshlrev_b32_e32 v2, 2, v2
	ds_store_b32 v2, v13 offset:84
.LBB9_81:
	s_or_b32 exec_lo, exec_lo, s4
	s_waitcnt vmcnt(0) lgkmcnt(0)
	s_waitcnt_vscnt null, 0x0
	; wave barrier
	s_waitcnt lgkmcnt(0)
	buffer_gl0_inv
	s_and_saveexec_b32 s3, vcc_lo
	s_cbranch_execz .LBB9_83
; %bb.82:
	v_dual_mov_b32 v2, 0 :: v_dual_lshlrev_b32 v1, 2, v1
	ds_store_b32 v1, v2 offset:12
.LBB9_83:
	s_or_b32 exec_lo, exec_lo, s3
	s_waitcnt vmcnt(0) lgkmcnt(0)
	s_waitcnt_vscnt null, 0x0
	; wave barrier
	s_waitcnt lgkmcnt(0)
	buffer_gl0_inv
	s_and_saveexec_b32 s3, s2
	s_cbranch_execnz .LBB9_93
; %bb.84:
	s_or_b32 exec_lo, exec_lo, s3
	s_and_saveexec_b32 s3, s1
	s_cbranch_execnz .LBB9_94
.LBB9_85:
	s_or_b32 exec_lo, exec_lo, s3
	s_and_saveexec_b32 s3, s0
	s_cbranch_execz .LBB9_87
.LBB9_86:
	v_lshlrev_b32_e32 v1, 2, v0
	ds_load_2addr_b32 v[1:2], v1 offset0:15 offset1:33
	ds_load_u8 v3, v0 offset:220
	s_waitcnt lgkmcnt(1)
	v_sub_nc_u32_e32 v1, v2, v1
	s_waitcnt lgkmcnt(0)
	s_delay_alu instid0(VALU_DEP_1)
	v_add_nc_u16 v1, v3, v1
	ds_store_b8 v0, v1 offset:220
.LBB9_87:
	s_or_b32 exec_lo, exec_lo, s3
	s_mul_i32 s3, s15, 18
	s_waitcnt lgkmcnt(0)
	v_mov_b32_e32 v1, s3
	; wave barrier
	buffer_gl0_inv
	s_and_saveexec_b32 s4, s2
	s_cbranch_execnz .LBB9_95
; %bb.88:
	s_or_b32 exec_lo, exec_lo, s4
	s_and_saveexec_b32 s2, s1
	s_cbranch_execnz .LBB9_96
.LBB9_89:
	s_or_b32 exec_lo, exec_lo, s2
	s_and_saveexec_b32 s1, s0
	s_cbranch_execnz .LBB9_97
.LBB9_90:
	s_nop 0
	s_sendmsg sendmsg(MSG_DEALLOC_VGPRS)
	s_endpgm
.LBB9_91:
	v_mov_b32_e32 v9, 0
	ds_store_b8 v0, v9 offset:208
	s_or_b32 exec_lo, exec_lo, s0
	v_cmp_gt_u32_e64 s1, 12, v0
	s_delay_alu instid0(VALU_DEP_1)
	s_and_saveexec_b32 s0, s1
	s_cbranch_execz .LBB9_2
.LBB9_92:
	v_mov_b32_e32 v9, 0
	ds_store_b8 v0, v9 offset:214
	s_or_b32 exec_lo, exec_lo, s0
	v_cmp_gt_u32_e64 s0, 6, v0
	s_delay_alu instid0(VALU_DEP_1)
	s_and_saveexec_b32 s3, s0
	s_cbranch_execnz .LBB9_3
	s_branch .LBB9_4
.LBB9_93:
	v_lshlrev_b32_e32 v1, 2, v0
	ds_load_2addr_b32 v[1:2], v1 offset0:3 offset1:21
	ds_load_u8 v3, v0 offset:208
	s_waitcnt lgkmcnt(1)
	v_sub_nc_u32_e32 v1, v2, v1
	s_waitcnt lgkmcnt(0)
	s_delay_alu instid0(VALU_DEP_1)
	v_add_nc_u16 v1, v3, v1
	ds_store_b8 v0, v1 offset:208
	s_or_b32 exec_lo, exec_lo, s3
	s_and_saveexec_b32 s3, s1
	s_cbranch_execz .LBB9_85
.LBB9_94:
	v_lshlrev_b32_e32 v1, 2, v0
	ds_load_2addr_b32 v[1:2], v1 offset0:9 offset1:27
	ds_load_u8 v3, v0 offset:214
	s_waitcnt lgkmcnt(1)
	v_sub_nc_u32_e32 v1, v2, v1
	s_waitcnt lgkmcnt(0)
	s_delay_alu instid0(VALU_DEP_1)
	v_add_nc_u16 v1, v3, v1
	ds_store_b8 v0, v1 offset:214
	s_or_b32 exec_lo, exec_lo, s3
	s_and_saveexec_b32 s3, s0
	s_cbranch_execnz .LBB9_86
	s_branch .LBB9_87
.LBB9_95:
	ds_load_u8 v2, v0 offset:208
	s_add_i32 s2, s3, 6
	v_add_nc_u32_e32 v3, s3, v0
	v_mov_b32_e32 v1, s2
	s_waitcnt lgkmcnt(0)
	global_store_b8 v3, v2, s[10:11]
	s_or_b32 exec_lo, exec_lo, s4
	s_and_saveexec_b32 s2, s1
	s_cbranch_execz .LBB9_89
.LBB9_96:
	ds_load_u8 v2, v0 offset:214
	v_add_nc_u32_e32 v3, 6, v1
	s_delay_alu instid0(VALU_DEP_1)
	v_dual_mov_b32 v1, v3 :: v_dual_add_nc_u32 v4, v1, v0
	s_waitcnt lgkmcnt(0)
	global_store_b8 v4, v2, s[10:11]
	s_or_b32 exec_lo, exec_lo, s2
	s_and_saveexec_b32 s1, s0
	s_cbranch_execz .LBB9_90
.LBB9_97:
	ds_load_u8 v2, v0 offset:220
	v_add_nc_u32_e32 v0, v1, v0
	s_waitcnt lgkmcnt(0)
	global_store_b8 v0, v2, s[10:11]
	s_nop 0
	s_sendmsg sendmsg(MSG_DEALLOC_VGPRS)
	s_endpgm
	.section	.rodata,"a",@progbits
	.p2align	6, 0x0
	.amdhsa_kernel _Z16histogram_kernelILj6ELj32ELj18ELN6hipcub23BlockHistogramAlgorithmE1EhEvPT3_S3_
		.amdhsa_group_segment_fixed_size 226
		.amdhsa_private_segment_fixed_size 0
		.amdhsa_kernarg_size 16
		.amdhsa_user_sgpr_count 15
		.amdhsa_user_sgpr_dispatch_ptr 0
		.amdhsa_user_sgpr_queue_ptr 0
		.amdhsa_user_sgpr_kernarg_segment_ptr 1
		.amdhsa_user_sgpr_dispatch_id 0
		.amdhsa_user_sgpr_private_segment_size 0
		.amdhsa_wavefront_size32 1
		.amdhsa_uses_dynamic_stack 0
		.amdhsa_enable_private_segment 0
		.amdhsa_system_sgpr_workgroup_id_x 1
		.amdhsa_system_sgpr_workgroup_id_y 0
		.amdhsa_system_sgpr_workgroup_id_z 0
		.amdhsa_system_sgpr_workgroup_info 0
		.amdhsa_system_vgpr_workitem_id 0
		.amdhsa_next_free_vgpr 124
		.amdhsa_next_free_sgpr 16
		.amdhsa_reserve_vcc 1
		.amdhsa_float_round_mode_32 0
		.amdhsa_float_round_mode_16_64 0
		.amdhsa_float_denorm_mode_32 3
		.amdhsa_float_denorm_mode_16_64 3
		.amdhsa_dx10_clamp 1
		.amdhsa_ieee_mode 1
		.amdhsa_fp16_overflow 0
		.amdhsa_workgroup_processor_mode 1
		.amdhsa_memory_ordered 1
		.amdhsa_forward_progress 0
		.amdhsa_shared_vgpr_count 0
		.amdhsa_exception_fp_ieee_invalid_op 0
		.amdhsa_exception_fp_denorm_src 0
		.amdhsa_exception_fp_ieee_div_zero 0
		.amdhsa_exception_fp_ieee_overflow 0
		.amdhsa_exception_fp_ieee_underflow 0
		.amdhsa_exception_fp_ieee_inexact 0
		.amdhsa_exception_int_div_zero 0
	.end_amdhsa_kernel
	.section	.text._Z16histogram_kernelILj6ELj32ELj18ELN6hipcub23BlockHistogramAlgorithmE1EhEvPT3_S3_,"axG",@progbits,_Z16histogram_kernelILj6ELj32ELj18ELN6hipcub23BlockHistogramAlgorithmE1EhEvPT3_S3_,comdat
.Lfunc_end9:
	.size	_Z16histogram_kernelILj6ELj32ELj18ELN6hipcub23BlockHistogramAlgorithmE1EhEvPT3_S3_, .Lfunc_end9-_Z16histogram_kernelILj6ELj32ELj18ELN6hipcub23BlockHistogramAlgorithmE1EhEvPT3_S3_
                                        ; -- End function
	.section	.AMDGPU.csdata,"",@progbits
; Kernel info:
; codeLenInByte = 7764
; NumSgprs: 18
; NumVgprs: 124
; ScratchSize: 0
; MemoryBound: 0
; FloatMode: 240
; IeeeMode: 1
; LDSByteSize: 226 bytes/workgroup (compile time only)
; SGPRBlocks: 2
; VGPRBlocks: 15
; NumSGPRsForWavesPerEU: 18
; NumVGPRsForWavesPerEU: 124
; Occupancy: 10
; WaveLimiterHint : 0
; COMPUTE_PGM_RSRC2:SCRATCH_EN: 0
; COMPUTE_PGM_RSRC2:USER_SGPR: 15
; COMPUTE_PGM_RSRC2:TRAP_HANDLER: 0
; COMPUTE_PGM_RSRC2:TGID_X_EN: 1
; COMPUTE_PGM_RSRC2:TGID_Y_EN: 0
; COMPUTE_PGM_RSRC2:TGID_Z_EN: 0
; COMPUTE_PGM_RSRC2:TIDIG_COMP_CNT: 0
	.section	.text._Z16histogram_kernelILj255ELj15ELj255ELN6hipcub23BlockHistogramAlgorithmE1EjEvPT3_S3_,"axG",@progbits,_Z16histogram_kernelILj255ELj15ELj255ELN6hipcub23BlockHistogramAlgorithmE1EjEvPT3_S3_,comdat
	.protected	_Z16histogram_kernelILj255ELj15ELj255ELN6hipcub23BlockHistogramAlgorithmE1EjEvPT3_S3_ ; -- Begin function _Z16histogram_kernelILj255ELj15ELj255ELN6hipcub23BlockHistogramAlgorithmE1EjEvPT3_S3_
	.globl	_Z16histogram_kernelILj255ELj15ELj255ELN6hipcub23BlockHistogramAlgorithmE1EjEvPT3_S3_
	.p2align	8
	.type	_Z16histogram_kernelILj255ELj15ELj255ELN6hipcub23BlockHistogramAlgorithmE1EjEvPT3_S3_,@function
_Z16histogram_kernelILj255ELj15ELj255ELN6hipcub23BlockHistogramAlgorithmE1EjEvPT3_S3_: ; @_Z16histogram_kernelILj255ELj15ELj255ELN6hipcub23BlockHistogramAlgorithmE1EjEvPT3_S3_
; %bb.0:
	v_mad_u64_u32 v[1:2], null, 0xff, s15, v[0:1]
	s_load_b128 s[12:15], s[0:1], 0x0
	v_cmp_gt_u32_e64 s0, 0xff, v0
	s_delay_alu instid0(VALU_DEP_2) | instskip(NEXT) | instid1(VALU_DEP_1)
	v_mul_lo_u32 v2, v1, 15
	v_dual_mov_b32 v3, 0 :: v_dual_add_nc_u32 v4, 1, v2
	s_delay_alu instid0(VALU_DEP_1) | instskip(SKIP_2) | instid1(VALU_DEP_3)
	v_dual_mov_b32 v5, v3 :: v_dual_add_nc_u32 v6, 2, v2
	v_lshlrev_b64 v[12:13], 2, v[2:3]
	v_dual_mov_b32 v7, v3 :: v_dual_add_nc_u32 v8, 3, v2
	v_lshlrev_b64 v[4:5], 2, v[4:5]
	v_dual_mov_b32 v9, v3 :: v_dual_add_nc_u32 v10, 4, v2
	s_waitcnt lgkmcnt(0)
	s_delay_alu instid0(VALU_DEP_4)
	v_add_co_u32 v12, vcc_lo, s12, v12
	v_lshlrev_b64 v[6:7], 2, v[6:7]
	v_mov_b32_e32 v11, v3
	v_add_co_ci_u32_e32 v13, vcc_lo, s13, v13, vcc_lo
	v_add_co_u32 v14, vcc_lo, s12, v4
	v_add_nc_u32_e32 v4, 5, v2
	v_lshlrev_b64 v[8:9], 2, v[8:9]
	v_add_co_ci_u32_e32 v15, vcc_lo, s13, v5, vcc_lo
	v_dual_mov_b32 v5, v3 :: v_dual_add_nc_u32 v16, 6, v2
	v_lshlrev_b64 v[10:11], 2, v[10:11]
	v_add_co_u32 v6, vcc_lo, s12, v6
	v_add_co_ci_u32_e32 v7, vcc_lo, s13, v7, vcc_lo
	v_add_co_u32 v8, vcc_lo, s12, v8
	v_lshlrev_b64 v[4:5], 2, v[4:5]
	v_add_co_ci_u32_e32 v9, vcc_lo, s13, v9, vcc_lo
	v_dual_mov_b32 v17, v3 :: v_dual_add_nc_u32 v18, 7, v2
	v_add_co_u32 v10, vcc_lo, s12, v10
	v_mov_b32_e32 v19, v3
	v_add_co_ci_u32_e32 v11, vcc_lo, s13, v11, vcc_lo
	v_add_co_u32 v20, vcc_lo, s12, v4
	v_lshlrev_b64 v[16:17], 2, v[16:17]
	v_add_co_ci_u32_e32 v21, vcc_lo, s13, v5, vcc_lo
	v_lshlrev_b64 v[4:5], 2, v[18:19]
	v_add_nc_u32_e32 v18, 8, v2
	v_dual_mov_b32 v25, v3 :: v_dual_add_nc_u32 v24, 9, v2
	v_add_co_u32 v16, vcc_lo, s12, v16
	s_delay_alu instid0(VALU_DEP_3)
	v_lshlrev_b64 v[18:19], 2, v[18:19]
	v_add_co_ci_u32_e32 v17, vcc_lo, s13, v17, vcc_lo
	v_add_co_u32 v22, vcc_lo, s12, v4
	v_add_co_ci_u32_e32 v23, vcc_lo, s13, v5, vcc_lo
	s_clause 0x7
	global_load_b32 v4, v[12:13], off
	global_load_b32 v5, v[14:15], off
	;; [unrolled: 1-line block ×8, first 2 shown]
	v_lshlrev_b64 v[12:13], 2, v[24:25]
	v_dual_mov_b32 v15, v3 :: v_dual_add_nc_u32 v14, 10, v2
	v_add_co_u32 v16, vcc_lo, s12, v18
	v_add_co_ci_u32_e32 v17, vcc_lo, s13, v19, vcc_lo
	v_dual_mov_b32 v19, v3 :: v_dual_add_nc_u32 v18, 11, v2
	s_delay_alu instid0(VALU_DEP_4) | instskip(SKIP_2) | instid1(VALU_DEP_4)
	v_lshlrev_b64 v[14:15], 2, v[14:15]
	v_add_co_u32 v20, vcc_lo, s12, v12
	v_add_co_ci_u32_e32 v21, vcc_lo, s13, v13, vcc_lo
	v_lshlrev_b64 v[12:13], 2, v[18:19]
	v_dual_mov_b32 v23, v3 :: v_dual_add_nc_u32 v18, 12, v2
	v_add_co_u32 v14, vcc_lo, s12, v14
	v_add_nc_u32_e32 v22, 13, v2
	v_add_co_ci_u32_e32 v15, vcc_lo, s13, v15, vcc_lo
	s_delay_alu instid0(VALU_DEP_4)
	v_lshlrev_b64 v[18:19], 2, v[18:19]
	v_add_co_u32 v24, vcc_lo, s12, v12
	v_add_nc_u32_e32 v2, 14, v2
	v_add_co_ci_u32_e32 v25, vcc_lo, s13, v13, vcc_lo
	v_lshlrev_b64 v[12:13], 2, v[22:23]
	v_add_co_u32 v18, vcc_lo, s12, v18
	s_delay_alu instid0(VALU_DEP_4) | instskip(SKIP_1) | instid1(VALU_DEP_4)
	v_lshlrev_b64 v[22:23], 2, v[2:3]
	v_add_co_ci_u32_e32 v19, vcc_lo, s13, v19, vcc_lo
	v_add_co_u32 v26, vcc_lo, s12, v12
	v_add_co_ci_u32_e32 v27, vcc_lo, s13, v13, vcc_lo
	s_delay_alu instid0(VALU_DEP_4)
	v_add_co_u32 v22, vcc_lo, s12, v22
	v_add_co_ci_u32_e32 v23, vcc_lo, s13, v23, vcc_lo
	s_clause 0x6
	global_load_b32 v12, v[16:17], off
	global_load_b32 v13, v[20:21], off
	;; [unrolled: 1-line block ×7, first 2 shown]
	v_lshlrev_b32_e32 v18, 2, v0
	s_mov_b32 s13, 0
	s_and_saveexec_b32 s1, s0
	s_cbranch_execz .LBB10_2
; %bb.1:
	ds_store_b32 v18, v3 offset:15312
.LBB10_2:
	s_or_b32 exec_lo, exec_lo, s1
	v_mbcnt_lo_u32_b32 v19, -1, 0
	v_lshlrev_b32_e32 v2, 5, v0
	v_cmp_gt_u32_e64 s7, 8, v0
	v_cmp_lt_u32_e64 s8, 31, v0
	v_add_nc_u32_e32 v31, 0xffffff01, v0
	v_add_nc_u32_e32 v23, -1, v19
	v_and_b32_e32 v21, 15, v19
	v_and_b32_e32 v22, 16, v19
	v_cmp_eq_u32_e64 s9, 0, v19
	s_waitcnt vmcnt(0) lgkmcnt(0)
	v_cmp_gt_i32_e32 vcc_lo, 0, v23
	v_and_b32_e32 v20, 0xe0, v0
	v_cmp_eq_u32_e64 s1, 0, v21
	v_cmp_lt_u32_e64 s2, 1, v21
	v_cmp_lt_u32_e64 s3, 3, v21
	;; [unrolled: 1-line block ×3, first 2 shown]
	v_cndmask_b32_e32 v21, v23, v19, vcc_lo
	v_min_u32_e32 v20, 0xdf, v20
	v_cmp_eq_u32_e64 s5, 0, v22
	v_and_b32_e32 v22, 7, v19
	v_mul_u32_u24_e32 v19, 15, v0
	v_lshlrev_b32_e32 v26, 2, v21
	v_add_nc_u32_e32 v20, 31, v20
	s_barrier
	v_cmp_eq_u32_e64 s10, 0, v22
	v_cmp_lt_u32_e64 s11, 1, v22
	v_cmp_lt_u32_e64 s12, 3, v22
	v_cmp_eq_u32_e64 s6, v20, v0
	v_lshrrev_b32_e32 v20, 3, v0
	buffer_gl0_inv
	v_and_b32_e32 v27, 28, v20
	v_lshlrev_b32_e32 v20, 2, v19
	s_branch .LBB10_4
.LBB10_3:                               ;   in Loop: Header=BB10_4 Depth=1
	v_lshlrev_b32_e32 v4, 2, v53
	v_lshlrev_b32_e32 v5, 2, v52
	v_lshlrev_b32_e32 v6, 2, v51
	v_lshlrev_b32_e32 v7, 2, v50
	v_lshlrev_b32_e32 v8, 2, v49
	s_barrier
	buffer_gl0_inv
	ds_store_b32 v4, v38
	ds_store_b32 v5, v37
	;; [unrolled: 1-line block ×5, first 2 shown]
	v_lshlrev_b32_e32 v4, 2, v48
	v_lshlrev_b32_e32 v5, 2, v47
	;; [unrolled: 1-line block ×5, first 2 shown]
	ds_store_b32 v4, v33
	ds_store_b32 v5, v32
	;; [unrolled: 1-line block ×5, first 2 shown]
	v_lshlrev_b32_e32 v4, 2, v43
	v_lshlrev_b32_e32 v5, 2, v42
	;; [unrolled: 1-line block ×5, first 2 shown]
	ds_store_b32 v4, v25
	ds_store_b32 v5, v24
	;; [unrolled: 1-line block ×5, first 2 shown]
	s_waitcnt lgkmcnt(0)
	s_barrier
	buffer_gl0_inv
	ds_load_2addr_b32 v[4:5], v20 offset1:1
	ds_load_2addr_b32 v[6:7], v20 offset0:2 offset1:3
	ds_load_2addr_b32 v[8:9], v20 offset0:4 offset1:5
	;; [unrolled: 1-line block ×6, first 2 shown]
	ds_load_b32 v54, v20 offset:56
	s_add_i32 s13, s13, 4
	s_waitcnt lgkmcnt(0)
	s_barrier
	buffer_gl0_inv
	s_cbranch_execz .LBB10_14
.LBB10_4:                               ; =>This Loop Header: Depth=1
                                        ;     Child Loop BB10_5 Depth 2
	v_dual_mov_b32 v21, v54 :: v_dual_mov_b32 v22, v17
	v_dual_mov_b32 v23, v16 :: v_dual_mov_b32 v24, v15
	;; [unrolled: 1-line block ×8, first 2 shown]
	v_mov_b32_e32 v4, v31
	s_mov_b32 s16, 0
.LBB10_5:                               ;   Parent Loop BB10_4 Depth=1
                                        ; =>  This Inner Loop Header: Depth=2
	s_delay_alu instid0(VALU_DEP_1) | instskip(SKIP_4) | instid1(SALU_CYCLE_1)
	v_add_nc_u32_e32 v4, 0xff, v4
	ds_store_b32 v5, v3
	v_add_nc_u32_e32 v5, 0x3fc, v5
	v_cmp_lt_u32_e32 vcc_lo, 0x6f8, v4
	s_or_b32 s16, vcc_lo, s16
	s_and_not1_b32 exec_lo, exec_lo, s16
	s_cbranch_execnz .LBB10_5
; %bb.6:                                ;   in Loop: Header=BB10_4 Depth=1
	s_or_b32 exec_lo, exec_lo, s16
	v_lshrrev_b32_e32 v4, s13, v38
	v_bfe_u32 v5, v38, s13, 3
	s_delay_alu instid0(VALU_DEP_2) | instskip(NEXT) | instid1(VALU_DEP_2)
	v_lshrrev_b32_e32 v4, 2, v4
	v_mad_u32_u24 v5, 0xff, v5, v0
	s_delay_alu instid0(VALU_DEP_2) | instskip(NEXT) | instid1(VALU_DEP_1)
	v_and_b32_e32 v4, 2, v4
	v_lshl_or_b32 v12, v5, 2, v4
	v_lshrrev_b32_e32 v4, s13, v37
	v_bfe_u32 v5, v37, s13, 3
	ds_load_u16 v15, v12
	v_lshrrev_b32_e32 v4, 2, v4
	v_mad_u32_u24 v5, 0xff, v5, v0
	s_delay_alu instid0(VALU_DEP_2) | instskip(NEXT) | instid1(VALU_DEP_1)
	v_and_b32_e32 v4, 2, v4
	v_lshl_or_b32 v13, v5, 2, v4
	v_lshrrev_b32_e32 v4, s13, v36
	v_bfe_u32 v5, v36, s13, 3
	s_delay_alu instid0(VALU_DEP_2) | instskip(NEXT) | instid1(VALU_DEP_2)
	v_lshrrev_b32_e32 v4, 2, v4
	v_mad_u32_u24 v5, 0xff, v5, v0
	s_waitcnt lgkmcnt(0)
	v_add_nc_u16 v6, v15, 1
	s_delay_alu instid0(VALU_DEP_3)
	v_and_b32_e32 v4, 2, v4
	ds_store_b16 v12, v6
	ds_load_u16 v17, v13
	v_lshl_or_b32 v14, v5, 2, v4
	v_lshrrev_b32_e32 v4, s13, v35
	v_bfe_u32 v5, v35, s13, 3
	s_delay_alu instid0(VALU_DEP_2) | instskip(NEXT) | instid1(VALU_DEP_2)
	v_lshrrev_b32_e32 v4, 2, v4
	v_mad_u32_u24 v5, 0xff, v5, v0
	s_delay_alu instid0(VALU_DEP_2) | instskip(NEXT) | instid1(VALU_DEP_1)
	v_and_b32_e32 v4, 2, v4
	v_lshl_or_b32 v16, v5, 2, v4
	v_lshrrev_b32_e32 v4, s13, v34
	v_bfe_u32 v5, v34, s13, 3
	s_waitcnt lgkmcnt(0)
	v_add_nc_u16 v6, v17, 1
	s_delay_alu instid0(VALU_DEP_3) | instskip(NEXT) | instid1(VALU_DEP_3)
	v_lshrrev_b32_e32 v4, 2, v4
	v_mad_u32_u24 v5, 0xff, v5, v0
	ds_store_b16 v13, v6
	ds_load_u16 v40, v14
	v_and_b32_e32 v4, 2, v4
	s_delay_alu instid0(VALU_DEP_1) | instskip(SKIP_2) | instid1(VALU_DEP_2)
	v_lshl_or_b32 v39, v5, 2, v4
	v_lshrrev_b32_e32 v4, s13, v33
	v_bfe_u32 v5, v33, s13, 3
	v_lshrrev_b32_e32 v4, 2, v4
	s_delay_alu instid0(VALU_DEP_2) | instskip(NEXT) | instid1(VALU_DEP_2)
	v_mad_u32_u24 v5, 0xff, v5, v0
	v_and_b32_e32 v4, 2, v4
	s_waitcnt lgkmcnt(0)
	v_add_nc_u16 v6, v40, 1
	s_delay_alu instid0(VALU_DEP_2)
	v_lshl_or_b32 v41, v5, 2, v4
	v_lshrrev_b32_e32 v4, s13, v32
	ds_store_b16 v14, v6
	ds_load_u16 v42, v16
	v_bfe_u32 v5, v32, s13, 3
	v_lshrrev_b32_e32 v4, 2, v4
	s_delay_alu instid0(VALU_DEP_2) | instskip(NEXT) | instid1(VALU_DEP_2)
	v_mad_u32_u24 v5, 0xff, v5, v0
	v_and_b32_e32 v4, 2, v4
	s_delay_alu instid0(VALU_DEP_1) | instskip(SKIP_2) | instid1(VALU_DEP_2)
	v_lshl_or_b32 v43, v5, 2, v4
	v_lshrrev_b32_e32 v4, s13, v30
	v_bfe_u32 v5, v30, s13, 3
	v_lshrrev_b32_e32 v4, 2, v4
	s_waitcnt lgkmcnt(0)
	v_add_nc_u16 v6, v42, 1
	s_delay_alu instid0(VALU_DEP_3) | instskip(NEXT) | instid1(VALU_DEP_3)
	v_mad_u32_u24 v5, 0xff, v5, v0
	v_and_b32_e32 v4, 2, v4
	ds_store_b16 v16, v6
	ds_load_u16 v44, v39
	v_lshl_or_b32 v45, v5, 2, v4
	v_lshrrev_b32_e32 v4, s13, v29
	v_bfe_u32 v5, v29, s13, 3
	s_delay_alu instid0(VALU_DEP_2) | instskip(NEXT) | instid1(VALU_DEP_2)
	v_lshrrev_b32_e32 v4, 2, v4
	v_mad_u32_u24 v5, 0xff, v5, v0
	s_delay_alu instid0(VALU_DEP_2) | instskip(NEXT) | instid1(VALU_DEP_1)
	v_and_b32_e32 v4, 2, v4
	v_lshl_or_b32 v47, v5, 2, v4
	s_waitcnt lgkmcnt(0)
	v_add_nc_u16 v6, v44, 1
	v_lshrrev_b32_e32 v4, s13, v28
	v_bfe_u32 v5, v28, s13, 3
	ds_store_b16 v39, v6
	ds_load_u16 v46, v41
	v_lshrrev_b32_e32 v4, 2, v4
	v_mad_u32_u24 v5, 0xff, v5, v0
	s_delay_alu instid0(VALU_DEP_2) | instskip(NEXT) | instid1(VALU_DEP_1)
	v_and_b32_e32 v4, 2, v4
	v_lshl_or_b32 v49, v5, 2, v4
	v_lshrrev_b32_e32 v4, s13, v25
	v_bfe_u32 v5, v25, s13, 3
	s_delay_alu instid0(VALU_DEP_2) | instskip(NEXT) | instid1(VALU_DEP_2)
	v_lshrrev_b32_e32 v4, 2, v4
	v_mad_u32_u24 v5, 0xff, v5, v0
	s_waitcnt lgkmcnt(0)
	v_add_nc_u16 v6, v46, 1
	s_delay_alu instid0(VALU_DEP_3)
	v_and_b32_e32 v4, 2, v4
	ds_store_b16 v41, v6
	ds_load_u16 v48, v43
	v_lshl_or_b32 v52, v5, 2, v4
	v_lshrrev_b32_e32 v4, s13, v24
	v_bfe_u32 v5, v24, s13, 3
	s_delay_alu instid0(VALU_DEP_2) | instskip(NEXT) | instid1(VALU_DEP_2)
	v_lshrrev_b32_e32 v4, 2, v4
	v_mad_u32_u24 v5, 0xff, v5, v0
	s_delay_alu instid0(VALU_DEP_2) | instskip(NEXT) | instid1(VALU_DEP_1)
	v_and_b32_e32 v4, 2, v4
	v_lshl_or_b32 v55, v5, 2, v4
	v_lshrrev_b32_e32 v4, s13, v23
	v_bfe_u32 v5, v23, s13, 3
	s_waitcnt lgkmcnt(0)
	v_add_nc_u16 v6, v48, 1
	s_delay_alu instid0(VALU_DEP_3) | instskip(NEXT) | instid1(VALU_DEP_3)
	v_lshrrev_b32_e32 v4, 2, v4
	v_mad_u32_u24 v5, 0xff, v5, v0
	ds_store_b16 v43, v6
	ds_load_u16 v51, v45
	v_and_b32_e32 v4, 2, v4
	s_delay_alu instid0(VALU_DEP_1) | instskip(SKIP_2) | instid1(VALU_DEP_2)
	v_lshl_or_b32 v58, v5, 2, v4
	v_lshrrev_b32_e32 v4, s13, v22
	v_bfe_u32 v5, v22, s13, 3
	v_lshrrev_b32_e32 v4, 2, v4
	s_delay_alu instid0(VALU_DEP_2) | instskip(NEXT) | instid1(VALU_DEP_2)
	v_mad_u32_u24 v5, 0xff, v5, v0
	v_and_b32_e32 v4, 2, v4
	s_waitcnt lgkmcnt(0)
	v_add_nc_u16 v6, v51, 1
	s_delay_alu instid0(VALU_DEP_2)
	v_lshl_or_b32 v60, v5, 2, v4
	v_lshrrev_b32_e32 v4, s13, v21
	ds_store_b16 v45, v6
	ds_load_u16 v54, v47
	v_bfe_u32 v5, v21, s13, 3
	v_lshrrev_b32_e32 v4, 2, v4
	s_delay_alu instid0(VALU_DEP_2) | instskip(NEXT) | instid1(VALU_DEP_2)
	v_mad_u32_u24 v5, 0xff, v5, v0
	v_and_b32_e32 v4, 2, v4
	s_delay_alu instid0(VALU_DEP_1)
	v_lshl_or_b32 v62, v5, 2, v4
	s_waitcnt lgkmcnt(0)
	v_add_nc_u16 v6, v54, 1
	ds_store_b16 v47, v6
	ds_load_u16 v57, v49
	s_waitcnt lgkmcnt(0)
	v_add_nc_u16 v6, v57, 1
	ds_store_b16 v49, v6
	ds_load_u16 v50, v52
	;; [unrolled: 4-line block ×6, first 2 shown]
	s_waitcnt lgkmcnt(0)
	v_add_nc_u16 v4, v61, 1
	ds_store_b16 v62, v4
	s_waitcnt lgkmcnt(0)
	s_barrier
	buffer_gl0_inv
	ds_load_2addr_b32 v[10:11], v2 offset1:1
	ds_load_2addr_b32 v[8:9], v2 offset0:2 offset1:3
	ds_load_2addr_b32 v[6:7], v2 offset0:4 offset1:5
	;; [unrolled: 1-line block ×3, first 2 shown]
	s_waitcnt lgkmcnt(3)
	v_add_nc_u32_e32 v63, v11, v10
	s_waitcnt lgkmcnt(2)
	s_delay_alu instid0(VALU_DEP_1) | instskip(SKIP_1) | instid1(VALU_DEP_1)
	v_add3_u32 v63, v63, v8, v9
	s_waitcnt lgkmcnt(1)
	v_add3_u32 v63, v63, v6, v7
	s_waitcnt lgkmcnt(0)
	s_delay_alu instid0(VALU_DEP_1) | instskip(NEXT) | instid1(VALU_DEP_1)
	v_add3_u32 v5, v63, v4, v5
	v_mov_b32_dpp v63, v5 row_shr:1 row_mask:0xf bank_mask:0xf
	s_delay_alu instid0(VALU_DEP_1) | instskip(NEXT) | instid1(VALU_DEP_1)
	v_cndmask_b32_e64 v63, v63, 0, s1
	v_add_nc_u32_e32 v5, v63, v5
	s_delay_alu instid0(VALU_DEP_1) | instskip(NEXT) | instid1(VALU_DEP_1)
	v_mov_b32_dpp v63, v5 row_shr:2 row_mask:0xf bank_mask:0xf
	v_cndmask_b32_e64 v63, 0, v63, s2
	s_delay_alu instid0(VALU_DEP_1) | instskip(NEXT) | instid1(VALU_DEP_1)
	v_add_nc_u32_e32 v5, v5, v63
	v_mov_b32_dpp v63, v5 row_shr:4 row_mask:0xf bank_mask:0xf
	s_delay_alu instid0(VALU_DEP_1) | instskip(NEXT) | instid1(VALU_DEP_1)
	v_cndmask_b32_e64 v63, 0, v63, s3
	v_add_nc_u32_e32 v5, v5, v63
	s_delay_alu instid0(VALU_DEP_1) | instskip(NEXT) | instid1(VALU_DEP_1)
	v_mov_b32_dpp v63, v5 row_shr:8 row_mask:0xf bank_mask:0xf
	v_cndmask_b32_e64 v63, 0, v63, s4
	s_delay_alu instid0(VALU_DEP_1) | instskip(SKIP_3) | instid1(VALU_DEP_1)
	v_add_nc_u32_e32 v5, v5, v63
	ds_swizzle_b32 v63, v5 offset:swizzle(BROADCAST,32,15)
	s_waitcnt lgkmcnt(0)
	v_cndmask_b32_e64 v63, v63, 0, s5
	v_add_nc_u32_e32 v5, v5, v63
	s_and_saveexec_b32 s16, s6
	s_cbranch_execz .LBB10_8
; %bb.7:                                ;   in Loop: Header=BB10_4 Depth=1
	ds_store_b32 v27, v5 offset:8160
.LBB10_8:                               ;   in Loop: Header=BB10_4 Depth=1
	s_or_b32 exec_lo, exec_lo, s16
	s_waitcnt lgkmcnt(0)
	s_barrier
	buffer_gl0_inv
	s_and_saveexec_b32 s16, s7
	s_cbranch_execz .LBB10_10
; %bb.9:                                ;   in Loop: Header=BB10_4 Depth=1
	ds_load_b32 v63, v18 offset:8160
	s_waitcnt lgkmcnt(0)
	v_mov_b32_dpp v64, v63 row_shr:1 row_mask:0xf bank_mask:0xf
	s_delay_alu instid0(VALU_DEP_1) | instskip(NEXT) | instid1(VALU_DEP_1)
	v_cndmask_b32_e64 v64, v64, 0, s10
	v_add_nc_u32_e32 v63, v64, v63
	s_delay_alu instid0(VALU_DEP_1) | instskip(NEXT) | instid1(VALU_DEP_1)
	v_mov_b32_dpp v64, v63 row_shr:2 row_mask:0xf bank_mask:0xf
	v_cndmask_b32_e64 v64, 0, v64, s11
	s_delay_alu instid0(VALU_DEP_1) | instskip(NEXT) | instid1(VALU_DEP_1)
	v_add_nc_u32_e32 v63, v63, v64
	v_mov_b32_dpp v64, v63 row_shr:4 row_mask:0xf bank_mask:0xf
	s_delay_alu instid0(VALU_DEP_1) | instskip(NEXT) | instid1(VALU_DEP_1)
	v_cndmask_b32_e64 v64, 0, v64, s12
	v_add_nc_u32_e32 v63, v63, v64
	ds_store_b32 v18, v63 offset:8160
.LBB10_10:                              ;   in Loop: Header=BB10_4 Depth=1
	s_or_b32 exec_lo, exec_lo, s16
	v_mov_b32_e32 v63, 0
	s_waitcnt lgkmcnt(0)
	s_barrier
	buffer_gl0_inv
	s_and_saveexec_b32 s16, s8
	s_cbranch_execz .LBB10_12
; %bb.11:                               ;   in Loop: Header=BB10_4 Depth=1
	ds_load_b32 v63, v27 offset:8156
.LBB10_12:                              ;   in Loop: Header=BB10_4 Depth=1
	s_or_b32 exec_lo, exec_lo, s16
	s_waitcnt lgkmcnt(0)
	v_add_nc_u32_e32 v5, v63, v5
	ds_load_b32 v64, v3 offset:8188
	v_and_b32_e32 v15, 0xffff, v15
	v_and_b32_e32 v17, 0xffff, v17
	;; [unrolled: 1-line block ×3, first 2 shown]
	ds_bpermute_b32 v5, v26, v5
	v_and_b32_e32 v42, 0xffff, v42
	v_and_b32_e32 v44, 0xffff, v44
	;; [unrolled: 1-line block ×8, first 2 shown]
	s_cmp_gt_u32 s13, 27
	s_waitcnt lgkmcnt(0)
	v_cndmask_b32_e64 v5, v5, v63, s9
	v_and_b32_e32 v63, 0xffff, v48
	s_delay_alu instid0(VALU_DEP_2) | instskip(SKIP_1) | instid1(VALU_DEP_2)
	v_lshl_add_u32 v5, v64, 16, v5
	v_and_b32_e32 v64, 0xffff, v51
	v_add_nc_u32_e32 v10, v5, v10
	s_delay_alu instid0(VALU_DEP_1) | instskip(NEXT) | instid1(VALU_DEP_1)
	v_add_nc_u32_e32 v11, v10, v11
	v_add_nc_u32_e32 v8, v11, v8
	s_delay_alu instid0(VALU_DEP_1) | instskip(NEXT) | instid1(VALU_DEP_1)
	v_add_nc_u32_e32 v9, v8, v9
	;; [unrolled: 3-line block ×3, first 2 shown]
	v_add_nc_u32_e32 v4, v7, v4
	ds_store_2addr_b32 v2, v5, v10 offset1:1
	ds_store_2addr_b32 v2, v11, v8 offset0:2 offset1:3
	ds_store_2addr_b32 v2, v9, v6 offset0:4 offset1:5
	;; [unrolled: 1-line block ×3, first 2 shown]
	s_waitcnt lgkmcnt(0)
	s_barrier
	buffer_gl0_inv
	ds_load_u16 v4, v12
	ds_load_u16 v5, v13
	;; [unrolled: 1-line block ×15, first 2 shown]
	v_and_b32_e32 v41, 0xffff, v50
	v_and_b32_e32 v60, 0xffff, v53
	s_waitcnt lgkmcnt(14)
	v_add_nc_u32_e32 v53, v4, v15
	s_waitcnt lgkmcnt(13)
	v_add_nc_u32_e32 v52, v5, v17
	;; [unrolled: 2-line block ×15, first 2 shown]
	s_cbranch_scc0 .LBB10_3
; %bb.13:
                                        ; implicit-def: $vgpr54
                                        ; implicit-def: $vgpr17
                                        ; implicit-def: $vgpr15
                                        ; implicit-def: $vgpr13
                                        ; implicit-def: $vgpr11
                                        ; implicit-def: $vgpr9
                                        ; implicit-def: $vgpr7
                                        ; implicit-def: $vgpr5
                                        ; implicit-def: $sgpr13
.LBB10_14:
	v_lshlrev_b32_e32 v2, 2, v53
	v_lshlrev_b32_e32 v3, 2, v52
	;; [unrolled: 1-line block ×5, first 2 shown]
	s_barrier
	buffer_gl0_inv
	ds_store_b32 v2, v38
	ds_store_b32 v3, v37
	;; [unrolled: 1-line block ×5, first 2 shown]
	v_lshlrev_b32_e32 v2, 2, v48
	v_lshlrev_b32_e32 v3, 2, v47
	;; [unrolled: 1-line block ×5, first 2 shown]
	ds_store_b32 v2, v33
	ds_store_b32 v3, v32
	;; [unrolled: 1-line block ×5, first 2 shown]
	v_lshlrev_b32_e32 v2, 2, v43
	v_lshlrev_b32_e32 v3, 2, v42
	;; [unrolled: 1-line block ×5, first 2 shown]
	ds_store_b32 v2, v25
	ds_store_b32 v3, v24
	;; [unrolled: 1-line block ×5, first 2 shown]
	s_waitcnt lgkmcnt(0)
	s_barrier
	buffer_gl0_inv
	ds_load_2addr_b32 v[2:3], v20 offset1:1
	ds_load_2addr_b32 v[4:5], v20 offset0:2 offset1:3
	ds_load_2addr_b32 v[6:7], v20 offset0:4 offset1:5
	ds_load_2addr_b32 v[8:9], v20 offset0:6 offset1:7
	ds_load_2addr_b32 v[10:11], v20 offset0:8 offset1:9
	ds_load_2addr_b32 v[12:13], v20 offset0:10 offset1:11
	ds_load_2addr_b32 v[14:15], v20 offset0:12 offset1:13
	ds_load_b32 v16, v20 offset:56
	s_waitcnt lgkmcnt(0)
	s_barrier
	buffer_gl0_inv
	s_and_saveexec_b32 s1, s0
	s_cbranch_execz .LBB10_16
; %bb.15:
	v_mov_b32_e32 v17, 0xef1
	v_add_nc_u32_e32 v20, 0x7f8, v18
	ds_store_2addr_b32 v20, v17, v17 offset1:255
.LBB10_16:
	s_or_b32 exec_lo, exec_lo, s1
	v_lshlrev_b32_e32 v17, 2, v15
	s_mov_b32 s1, exec_lo
	s_waitcnt lgkmcnt(0)
	s_barrier
	buffer_gl0_inv
	ds_store_b32 v18, v16
	v_cmpx_ne_u32_e64 v15, v16
	s_cbranch_execz .LBB10_18
; %bb.17:
	v_add_nc_u32_e32 v20, 14, v19
	v_lshlrev_b32_e32 v16, 2, v16
	ds_store_b32 v16, v20 offset:2040
	ds_store_b32 v17, v20 offset:3060
.LBB10_18:
	s_or_b32 exec_lo, exec_lo, s1
	v_cmp_ne_u32_e32 vcc_lo, v14, v15
	v_lshlrev_b32_e32 v15, 2, v14
	s_and_saveexec_b32 s1, vcc_lo
	s_cbranch_execz .LBB10_20
; %bb.19:
	v_add_nc_u32_e32 v16, 13, v19
	ds_store_b32 v17, v16 offset:2040
	ds_store_b32 v15, v16 offset:3060
.LBB10_20:
	s_or_b32 exec_lo, exec_lo, s1
	v_cmp_ne_u32_e32 vcc_lo, v13, v14
	v_lshlrev_b32_e32 v14, 2, v13
	s_and_saveexec_b32 s1, vcc_lo
	s_cbranch_execz .LBB10_22
; %bb.21:
	v_add_nc_u32_e32 v16, 12, v19
	ds_store_b32 v15, v16 offset:2040
	ds_store_b32 v14, v16 offset:3060
.LBB10_22:
	;; [unrolled: 10-line block ×13, first 2 shown]
	s_or_b32 exec_lo, exec_lo, s1
	v_cmp_eq_u32_e32 vcc_lo, 0, v0
	s_mov_b32 s2, exec_lo
	s_waitcnt lgkmcnt(0)
	s_barrier
	buffer_gl0_inv
	v_cmpx_ne_u32_e32 0, v0
	s_cbranch_execz .LBB10_47
; %bb.45:
	v_add_nc_u32_e32 v0, -4, v18
	ds_load_b32 v4, v0
	s_waitcnt lgkmcnt(0)
	v_cmp_ne_u32_e64 s1, v4, v2
	s_delay_alu instid0(VALU_DEP_1)
	s_and_b32 exec_lo, exec_lo, s1
	s_cbranch_execz .LBB10_47
; %bb.46:
	ds_store_b32 v3, v19 offset:2040
	ds_load_b32 v0, v0
	s_waitcnt lgkmcnt(0)
	v_lshlrev_b32_e32 v0, 2, v0
	ds_store_b32 v0, v19 offset:3060
.LBB10_47:
	s_or_b32 exec_lo, exec_lo, s2
	s_waitcnt lgkmcnt(0)
	s_barrier
	buffer_gl0_inv
	s_and_saveexec_b32 s1, vcc_lo
	s_cbranch_execz .LBB10_49
; %bb.48:
	v_mov_b32_e32 v0, 0
	ds_store_b32 v3, v0 offset:2040
.LBB10_49:
	s_or_b32 exec_lo, exec_lo, s1
	s_waitcnt lgkmcnt(0)
	s_barrier
	buffer_gl0_inv
	s_and_saveexec_b32 s1, s0
	s_cbranch_execz .LBB10_51
; %bb.50:
	v_add_nc_u32_e32 v0, 0x7f8, v18
	ds_load_2addr_b32 v[2:3], v0 offset1:255
	ds_load_b32 v0, v18 offset:15312
	s_waitcnt lgkmcnt(1)
	v_sub_nc_u32_e32 v2, v3, v2
	s_waitcnt lgkmcnt(0)
	s_delay_alu instid0(VALU_DEP_1)
	v_add_nc_u32_e32 v0, v2, v0
	ds_store_b32 v18, v0 offset:15312
.LBB10_51:
	s_or_b32 exec_lo, exec_lo, s1
	s_waitcnt lgkmcnt(0)
	s_barrier
	buffer_gl0_inv
	s_and_saveexec_b32 s1, s0
	s_cbranch_execz .LBB10_53
; %bb.52:
	ds_load_b32 v3, v18 offset:15312
	v_mov_b32_e32 v2, 0
	s_delay_alu instid0(VALU_DEP_1) | instskip(NEXT) | instid1(VALU_DEP_1)
	v_lshlrev_b64 v[0:1], 2, v[1:2]
	v_add_co_u32 v0, vcc_lo, s14, v0
	s_delay_alu instid0(VALU_DEP_2)
	v_add_co_ci_u32_e32 v1, vcc_lo, s15, v1, vcc_lo
	s_waitcnt lgkmcnt(0)
	global_store_b32 v[0:1], v3, off
.LBB10_53:
	s_nop 0
	s_sendmsg sendmsg(MSG_DEALLOC_VGPRS)
	s_endpgm
	.section	.rodata,"a",@progbits
	.p2align	6, 0x0
	.amdhsa_kernel _Z16histogram_kernelILj255ELj15ELj255ELN6hipcub23BlockHistogramAlgorithmE1EjEvPT3_S3_
		.amdhsa_group_segment_fixed_size 16332
		.amdhsa_private_segment_fixed_size 0
		.amdhsa_kernarg_size 16
		.amdhsa_user_sgpr_count 15
		.amdhsa_user_sgpr_dispatch_ptr 0
		.amdhsa_user_sgpr_queue_ptr 0
		.amdhsa_user_sgpr_kernarg_segment_ptr 1
		.amdhsa_user_sgpr_dispatch_id 0
		.amdhsa_user_sgpr_private_segment_size 0
		.amdhsa_wavefront_size32 1
		.amdhsa_uses_dynamic_stack 0
		.amdhsa_enable_private_segment 0
		.amdhsa_system_sgpr_workgroup_id_x 1
		.amdhsa_system_sgpr_workgroup_id_y 0
		.amdhsa_system_sgpr_workgroup_id_z 0
		.amdhsa_system_sgpr_workgroup_info 0
		.amdhsa_system_vgpr_workitem_id 0
		.amdhsa_next_free_vgpr 65
		.amdhsa_next_free_sgpr 17
		.amdhsa_reserve_vcc 1
		.amdhsa_float_round_mode_32 0
		.amdhsa_float_round_mode_16_64 0
		.amdhsa_float_denorm_mode_32 3
		.amdhsa_float_denorm_mode_16_64 3
		.amdhsa_dx10_clamp 1
		.amdhsa_ieee_mode 1
		.amdhsa_fp16_overflow 0
		.amdhsa_workgroup_processor_mode 1
		.amdhsa_memory_ordered 1
		.amdhsa_forward_progress 0
		.amdhsa_shared_vgpr_count 0
		.amdhsa_exception_fp_ieee_invalid_op 0
		.amdhsa_exception_fp_denorm_src 0
		.amdhsa_exception_fp_ieee_div_zero 0
		.amdhsa_exception_fp_ieee_overflow 0
		.amdhsa_exception_fp_ieee_underflow 0
		.amdhsa_exception_fp_ieee_inexact 0
		.amdhsa_exception_int_div_zero 0
	.end_amdhsa_kernel
	.section	.text._Z16histogram_kernelILj255ELj15ELj255ELN6hipcub23BlockHistogramAlgorithmE1EjEvPT3_S3_,"axG",@progbits,_Z16histogram_kernelILj255ELj15ELj255ELN6hipcub23BlockHistogramAlgorithmE1EjEvPT3_S3_,comdat
.Lfunc_end10:
	.size	_Z16histogram_kernelILj255ELj15ELj255ELN6hipcub23BlockHistogramAlgorithmE1EjEvPT3_S3_, .Lfunc_end10-_Z16histogram_kernelILj255ELj15ELj255ELN6hipcub23BlockHistogramAlgorithmE1EjEvPT3_S3_
                                        ; -- End function
	.section	.AMDGPU.csdata,"",@progbits
; Kernel info:
; codeLenInByte = 4528
; NumSgprs: 19
; NumVgprs: 65
; ScratchSize: 0
; MemoryBound: 0
; FloatMode: 240
; IeeeMode: 1
; LDSByteSize: 16332 bytes/workgroup (compile time only)
; SGPRBlocks: 2
; VGPRBlocks: 8
; NumSGPRsForWavesPerEU: 19
; NumVGPRsForWavesPerEU: 65
; Occupancy: 16
; WaveLimiterHint : 0
; COMPUTE_PGM_RSRC2:SCRATCH_EN: 0
; COMPUTE_PGM_RSRC2:USER_SGPR: 15
; COMPUTE_PGM_RSRC2:TRAP_HANDLER: 0
; COMPUTE_PGM_RSRC2:TGID_X_EN: 1
; COMPUTE_PGM_RSRC2:TGID_Y_EN: 0
; COMPUTE_PGM_RSRC2:TGID_Z_EN: 0
; COMPUTE_PGM_RSRC2:TIDIG_COMP_CNT: 0
	.section	.text._Z16histogram_kernelILj162ELj7ELj162ELN6hipcub23BlockHistogramAlgorithmE1EjEvPT3_S3_,"axG",@progbits,_Z16histogram_kernelILj162ELj7ELj162ELN6hipcub23BlockHistogramAlgorithmE1EjEvPT3_S3_,comdat
	.protected	_Z16histogram_kernelILj162ELj7ELj162ELN6hipcub23BlockHistogramAlgorithmE1EjEvPT3_S3_ ; -- Begin function _Z16histogram_kernelILj162ELj7ELj162ELN6hipcub23BlockHistogramAlgorithmE1EjEvPT3_S3_
	.globl	_Z16histogram_kernelILj162ELj7ELj162ELN6hipcub23BlockHistogramAlgorithmE1EjEvPT3_S3_
	.p2align	8
	.type	_Z16histogram_kernelILj162ELj7ELj162ELN6hipcub23BlockHistogramAlgorithmE1EjEvPT3_S3_,@function
_Z16histogram_kernelILj162ELj7ELj162ELN6hipcub23BlockHistogramAlgorithmE1EjEvPT3_S3_: ; @_Z16histogram_kernelILj162ELj7ELj162ELN6hipcub23BlockHistogramAlgorithmE1EjEvPT3_S3_
; %bb.0:
	v_mad_u64_u32 v[1:2], null, 0xa2, s15, v[0:1]
	s_load_b128 s[12:15], s[0:1], 0x0
	v_cmp_gt_u32_e64 s0, 0xa2, v0
	s_delay_alu instid0(VALU_DEP_2) | instskip(NEXT) | instid1(VALU_DEP_1)
	v_mul_lo_u32 v2, v1, 7
	v_dual_mov_b32 v3, 0 :: v_dual_add_nc_u32 v4, 1, v2
	s_delay_alu instid0(VALU_DEP_1) | instskip(SKIP_2) | instid1(VALU_DEP_3)
	v_dual_mov_b32 v5, v3 :: v_dual_add_nc_u32 v6, 2, v2
	v_lshlrev_b64 v[12:13], 2, v[2:3]
	v_dual_mov_b32 v7, v3 :: v_dual_add_nc_u32 v8, 3, v2
	v_lshlrev_b64 v[4:5], 2, v[4:5]
	v_dual_mov_b32 v9, v3 :: v_dual_add_nc_u32 v10, 4, v2
	s_waitcnt lgkmcnt(0)
	s_delay_alu instid0(VALU_DEP_4)
	v_add_co_u32 v12, vcc_lo, s12, v12
	v_lshlrev_b64 v[6:7], 2, v[6:7]
	v_mov_b32_e32 v11, v3
	v_add_co_ci_u32_e32 v13, vcc_lo, s13, v13, vcc_lo
	v_add_co_u32 v14, vcc_lo, s12, v4
	v_add_nc_u32_e32 v4, 5, v2
	v_lshlrev_b64 v[8:9], 2, v[8:9]
	v_add_co_ci_u32_e32 v15, vcc_lo, s13, v5, vcc_lo
	v_dual_mov_b32 v5, v3 :: v_dual_add_nc_u32 v2, 6, v2
	v_lshlrev_b64 v[10:11], 2, v[10:11]
	v_add_co_u32 v6, vcc_lo, s12, v6
	v_add_co_ci_u32_e32 v7, vcc_lo, s13, v7, vcc_lo
	v_add_co_u32 v8, vcc_lo, s12, v8
	v_lshlrev_b64 v[4:5], 2, v[4:5]
	v_add_co_ci_u32_e32 v9, vcc_lo, s13, v9, vcc_lo
	v_add_co_u32 v10, vcc_lo, s12, v10
	v_lshlrev_b64 v[16:17], 2, v[2:3]
	v_add_co_ci_u32_e32 v11, vcc_lo, s13, v11, vcc_lo
	v_add_co_u32 v18, vcc_lo, s12, v4
	v_add_co_ci_u32_e32 v19, vcc_lo, s13, v5, vcc_lo
	s_delay_alu instid0(VALU_DEP_4)
	v_add_co_u32 v16, vcc_lo, s12, v16
	v_add_co_ci_u32_e32 v17, vcc_lo, s13, v17, vcc_lo
	s_clause 0x6
	global_load_b32 v4, v[12:13], off
	global_load_b32 v5, v[14:15], off
	;; [unrolled: 1-line block ×7, first 2 shown]
	v_lshlrev_b32_e32 v12, 2, v0
	s_mov_b32 s13, 0
	s_and_saveexec_b32 s1, s0
	s_cbranch_execz .LBB11_2
; %bb.1:
	ds_store_b32 v12, v3 offset:5216
.LBB11_2:
	s_or_b32 exec_lo, exec_lo, s1
	v_mbcnt_lo_u32_b32 v11, -1, 0
	v_lshlrev_b32_e32 v2, 5, v0
	v_cmp_gt_u32_e64 s7, 6, v0
	v_cmp_lt_u32_e64 s8, 31, v0
	v_add_nc_u32_e32 v22, 0xffffff5e, v0
	v_add_nc_u32_e32 v16, -1, v11
	v_and_b32_e32 v14, 15, v11
	v_and_b32_e32 v15, 16, v11
	;; [unrolled: 1-line block ×3, first 2 shown]
	v_cmp_eq_u32_e64 s9, 0, v11
	v_cmp_gt_i32_e32 vcc_lo, 0, v16
	v_and_b32_e32 v13, 0xe0, v0
	v_cmp_eq_u32_e64 s1, 0, v14
	v_cmp_lt_u32_e64 s2, 1, v14
	v_cmp_lt_u32_e64 s3, 3, v14
	;; [unrolled: 1-line block ×3, first 2 shown]
	v_cndmask_b32_e32 v14, v16, v11, vcc_lo
	v_min_u32_e32 v13, 0x82, v13
	v_cmp_eq_u32_e64 s5, 0, v15
	v_lshrrev_b32_e32 v15, 3, v0
	v_cmp_eq_u32_e64 s10, 0, v17
	v_lshlrev_b32_e32 v16, 2, v14
	v_add_nc_u32_e32 v13, 31, v13
	v_cmp_lt_u32_e64 s11, 1, v17
	v_and_b32_e32 v20, 28, v15
	v_cmp_lt_u32_e64 s12, 3, v17
	s_waitcnt vmcnt(0) lgkmcnt(0)
	v_cmp_eq_u32_e64 s6, v13, v0
	v_mul_u32_u24_e32 v13, 7, v0
	s_barrier
	buffer_gl0_inv
	v_lshlrev_b32_e32 v14, 2, v13
	s_branch .LBB11_4
.LBB11_3:                               ;   in Loop: Header=BB11_4 Depth=1
	v_lshlrev_b32_e32 v4, 2, v30
	v_lshlrev_b32_e32 v5, 2, v29
	s_barrier
	buffer_gl0_inv
	ds_store_b32 v4, v24
	ds_store_b32 v5, v23
	v_lshlrev_b32_e32 v4, 2, v28
	v_lshlrev_b32_e32 v5, 2, v27
	;; [unrolled: 1-line block ×5, first 2 shown]
	ds_store_b32 v4, v21
	ds_store_b32 v5, v19
	;; [unrolled: 1-line block ×5, first 2 shown]
	s_waitcnt lgkmcnt(0)
	s_barrier
	buffer_gl0_inv
	ds_load_2addr_b32 v[4:5], v14 offset1:1
	ds_load_2addr_b32 v[6:7], v14 offset0:2 offset1:3
	ds_load_2addr_b32 v[8:9], v14 offset0:4 offset1:5
	ds_load_b32 v10, v14 offset:24
	s_add_i32 s13, s13, 4
	s_waitcnt lgkmcnt(0)
	s_barrier
	buffer_gl0_inv
	s_cbranch_execz .LBB11_14
.LBB11_4:                               ; =>This Loop Header: Depth=1
                                        ;     Child Loop BB11_5 Depth 2
	v_dual_mov_b32 v15, v10 :: v_dual_mov_b32 v18, v8
	v_dual_mov_b32 v17, v9 :: v_dual_mov_b32 v24, v4
	v_dual_mov_b32 v19, v7 :: v_dual_mov_b32 v4, v22
	v_mov_b32_e32 v21, v6
	v_mov_b32_e32 v23, v5
	;; [unrolled: 1-line block ×3, first 2 shown]
	s_mov_b32 s16, 0
.LBB11_5:                               ;   Parent Loop BB11_4 Depth=1
                                        ; =>  This Inner Loop Header: Depth=2
	v_add_nc_u32_e32 v4, 0xa2, v4
	ds_store_b32 v5, v3
	v_add_nc_u32_e32 v5, 0x288, v5
	v_cmp_lt_u32_e32 vcc_lo, 0x46d, v4
	s_or_b32 s16, vcc_lo, s16
	s_delay_alu instid0(SALU_CYCLE_1)
	s_and_not1_b32 exec_lo, exec_lo, s16
	s_cbranch_execnz .LBB11_5
; %bb.6:                                ;   in Loop: Header=BB11_4 Depth=1
	s_or_b32 exec_lo, exec_lo, s16
	v_lshrrev_b32_e32 v4, s13, v24
	v_bfe_u32 v5, v24, s13, 3
	s_delay_alu instid0(VALU_DEP_2) | instskip(NEXT) | instid1(VALU_DEP_2)
	v_lshrrev_b32_e32 v4, 2, v4
	v_mad_u32_u24 v5, 0xa2, v5, v0
	s_delay_alu instid0(VALU_DEP_2) | instskip(NEXT) | instid1(VALU_DEP_1)
	v_and_b32_e32 v4, 2, v4
	v_lshl_or_b32 v27, v5, 2, v4
	v_lshrrev_b32_e32 v4, s13, v23
	v_bfe_u32 v5, v23, s13, 3
	ds_load_u16 v25, v27
	v_lshrrev_b32_e32 v4, 2, v4
	v_mad_u32_u24 v5, 0xa2, v5, v0
	s_delay_alu instid0(VALU_DEP_2) | instskip(NEXT) | instid1(VALU_DEP_1)
	v_and_b32_e32 v4, 2, v4
	v_lshl_or_b32 v28, v5, 2, v4
	v_lshrrev_b32_e32 v4, s13, v21
	v_bfe_u32 v5, v21, s13, 3
	s_delay_alu instid0(VALU_DEP_2) | instskip(NEXT) | instid1(VALU_DEP_2)
	v_lshrrev_b32_e32 v4, 2, v4
	v_mad_u32_u24 v5, 0xa2, v5, v0
	s_waitcnt lgkmcnt(0)
	v_add_nc_u16 v6, v25, 1
	s_delay_alu instid0(VALU_DEP_3)
	v_and_b32_e32 v4, 2, v4
	ds_store_b16 v27, v6
	ds_load_u16 v26, v28
	v_lshl_or_b32 v30, v5, 2, v4
	v_lshrrev_b32_e32 v4, s13, v19
	v_bfe_u32 v5, v19, s13, 3
	s_delay_alu instid0(VALU_DEP_2) | instskip(NEXT) | instid1(VALU_DEP_2)
	v_lshrrev_b32_e32 v4, 2, v4
	v_mad_u32_u24 v5, 0xa2, v5, v0
	s_delay_alu instid0(VALU_DEP_2) | instskip(NEXT) | instid1(VALU_DEP_1)
	v_and_b32_e32 v4, 2, v4
	v_lshl_or_b32 v32, v5, 2, v4
	v_lshrrev_b32_e32 v4, s13, v18
	v_bfe_u32 v5, v18, s13, 3
	s_waitcnt lgkmcnt(0)
	v_add_nc_u16 v6, v26, 1
	s_delay_alu instid0(VALU_DEP_3) | instskip(NEXT) | instid1(VALU_DEP_3)
	v_lshrrev_b32_e32 v4, 2, v4
	v_mad_u32_u24 v5, 0xa2, v5, v0
	ds_store_b16 v28, v6
	ds_load_u16 v29, v30
	v_and_b32_e32 v4, 2, v4
	s_delay_alu instid0(VALU_DEP_1) | instskip(SKIP_2) | instid1(VALU_DEP_2)
	v_lshl_or_b32 v34, v5, 2, v4
	v_lshrrev_b32_e32 v4, s13, v17
	v_bfe_u32 v5, v17, s13, 3
	v_lshrrev_b32_e32 v4, 2, v4
	s_delay_alu instid0(VALU_DEP_2) | instskip(NEXT) | instid1(VALU_DEP_2)
	v_mad_u32_u24 v5, 0xa2, v5, v0
	v_and_b32_e32 v4, 2, v4
	s_waitcnt lgkmcnt(0)
	v_add_nc_u16 v6, v29, 1
	s_delay_alu instid0(VALU_DEP_2)
	v_lshl_or_b32 v36, v5, 2, v4
	v_lshrrev_b32_e32 v4, s13, v15
	ds_store_b16 v30, v6
	ds_load_u16 v31, v32
	v_bfe_u32 v5, v15, s13, 3
	v_lshrrev_b32_e32 v4, 2, v4
	s_delay_alu instid0(VALU_DEP_2) | instskip(NEXT) | instid1(VALU_DEP_2)
	v_mad_u32_u24 v5, 0xa2, v5, v0
	v_and_b32_e32 v4, 2, v4
	s_delay_alu instid0(VALU_DEP_1)
	v_lshl_or_b32 v38, v5, 2, v4
	s_waitcnt lgkmcnt(0)
	v_add_nc_u16 v6, v31, 1
	ds_store_b16 v32, v6
	ds_load_u16 v33, v34
	s_waitcnt lgkmcnt(0)
	v_add_nc_u16 v6, v33, 1
	ds_store_b16 v34, v6
	ds_load_u16 v35, v36
	;; [unrolled: 4-line block ×3, first 2 shown]
	s_waitcnt lgkmcnt(0)
	v_add_nc_u16 v4, v37, 1
	ds_store_b16 v38, v4
	s_waitcnt lgkmcnt(0)
	s_barrier
	buffer_gl0_inv
	ds_load_2addr_b32 v[10:11], v2 offset1:1
	ds_load_2addr_b32 v[8:9], v2 offset0:2 offset1:3
	ds_load_2addr_b32 v[4:5], v2 offset0:4 offset1:5
	;; [unrolled: 1-line block ×3, first 2 shown]
	s_waitcnt lgkmcnt(3)
	v_add_nc_u32_e32 v39, v11, v10
	s_waitcnt lgkmcnt(2)
	s_delay_alu instid0(VALU_DEP_1) | instskip(SKIP_1) | instid1(VALU_DEP_1)
	v_add3_u32 v39, v39, v8, v9
	s_waitcnt lgkmcnt(1)
	v_add3_u32 v39, v39, v4, v5
	s_waitcnt lgkmcnt(0)
	s_delay_alu instid0(VALU_DEP_1) | instskip(NEXT) | instid1(VALU_DEP_1)
	v_add3_u32 v7, v39, v6, v7
	v_mov_b32_dpp v39, v7 row_shr:1 row_mask:0xf bank_mask:0xf
	s_delay_alu instid0(VALU_DEP_1) | instskip(NEXT) | instid1(VALU_DEP_1)
	v_cndmask_b32_e64 v39, v39, 0, s1
	v_add_nc_u32_e32 v7, v39, v7
	s_delay_alu instid0(VALU_DEP_1) | instskip(NEXT) | instid1(VALU_DEP_1)
	v_mov_b32_dpp v39, v7 row_shr:2 row_mask:0xf bank_mask:0xf
	v_cndmask_b32_e64 v39, 0, v39, s2
	s_delay_alu instid0(VALU_DEP_1) | instskip(NEXT) | instid1(VALU_DEP_1)
	v_add_nc_u32_e32 v7, v7, v39
	v_mov_b32_dpp v39, v7 row_shr:4 row_mask:0xf bank_mask:0xf
	s_delay_alu instid0(VALU_DEP_1) | instskip(NEXT) | instid1(VALU_DEP_1)
	v_cndmask_b32_e64 v39, 0, v39, s3
	v_add_nc_u32_e32 v7, v7, v39
	s_delay_alu instid0(VALU_DEP_1) | instskip(NEXT) | instid1(VALU_DEP_1)
	v_mov_b32_dpp v39, v7 row_shr:8 row_mask:0xf bank_mask:0xf
	v_cndmask_b32_e64 v39, 0, v39, s4
	s_delay_alu instid0(VALU_DEP_1) | instskip(SKIP_3) | instid1(VALU_DEP_1)
	v_add_nc_u32_e32 v7, v7, v39
	ds_swizzle_b32 v39, v7 offset:swizzle(BROADCAST,32,15)
	s_waitcnt lgkmcnt(0)
	v_cndmask_b32_e64 v39, v39, 0, s5
	v_add_nc_u32_e32 v7, v7, v39
	s_and_saveexec_b32 s16, s6
	s_cbranch_execz .LBB11_8
; %bb.7:                                ;   in Loop: Header=BB11_4 Depth=1
	ds_store_b32 v20, v7 offset:5184
.LBB11_8:                               ;   in Loop: Header=BB11_4 Depth=1
	s_or_b32 exec_lo, exec_lo, s16
	s_waitcnt lgkmcnt(0)
	s_barrier
	buffer_gl0_inv
	s_and_saveexec_b32 s16, s7
	s_cbranch_execz .LBB11_10
; %bb.9:                                ;   in Loop: Header=BB11_4 Depth=1
	ds_load_b32 v39, v12 offset:5184
	s_waitcnt lgkmcnt(0)
	v_mov_b32_dpp v40, v39 row_shr:1 row_mask:0xf bank_mask:0xf
	s_delay_alu instid0(VALU_DEP_1) | instskip(NEXT) | instid1(VALU_DEP_1)
	v_cndmask_b32_e64 v40, v40, 0, s10
	v_add_nc_u32_e32 v39, v40, v39
	s_delay_alu instid0(VALU_DEP_1) | instskip(NEXT) | instid1(VALU_DEP_1)
	v_mov_b32_dpp v40, v39 row_shr:2 row_mask:0xf bank_mask:0xf
	v_cndmask_b32_e64 v40, 0, v40, s11
	s_delay_alu instid0(VALU_DEP_1) | instskip(NEXT) | instid1(VALU_DEP_1)
	v_add_nc_u32_e32 v39, v39, v40
	v_mov_b32_dpp v40, v39 row_shr:4 row_mask:0xf bank_mask:0xf
	s_delay_alu instid0(VALU_DEP_1) | instskip(NEXT) | instid1(VALU_DEP_1)
	v_cndmask_b32_e64 v40, 0, v40, s12
	v_add_nc_u32_e32 v39, v39, v40
	ds_store_b32 v12, v39 offset:5184
.LBB11_10:                              ;   in Loop: Header=BB11_4 Depth=1
	s_or_b32 exec_lo, exec_lo, s16
	v_mov_b32_e32 v39, 0
	s_waitcnt lgkmcnt(0)
	s_barrier
	buffer_gl0_inv
	s_and_saveexec_b32 s16, s8
	s_cbranch_execz .LBB11_12
; %bb.11:                               ;   in Loop: Header=BB11_4 Depth=1
	ds_load_b32 v39, v20 offset:5180
.LBB11_12:                              ;   in Loop: Header=BB11_4 Depth=1
	s_or_b32 exec_lo, exec_lo, s16
	s_waitcnt lgkmcnt(0)
	v_add_nc_u32_e32 v7, v39, v7
	ds_load_b32 v40, v3 offset:5204
	s_cmp_gt_u32 s13, 27
	ds_bpermute_b32 v7, v16, v7
	s_waitcnt lgkmcnt(0)
	v_cndmask_b32_e64 v7, v7, v39, s9
	s_delay_alu instid0(VALU_DEP_1) | instskip(NEXT) | instid1(VALU_DEP_1)
	v_lshl_add_u32 v7, v40, 16, v7
	v_add_nc_u32_e32 v10, v7, v10
	s_delay_alu instid0(VALU_DEP_1) | instskip(NEXT) | instid1(VALU_DEP_1)
	v_add_nc_u32_e32 v11, v10, v11
	v_add_nc_u32_e32 v8, v11, v8
	s_delay_alu instid0(VALU_DEP_1) | instskip(NEXT) | instid1(VALU_DEP_1)
	v_add_nc_u32_e32 v9, v8, v9
	;; [unrolled: 3-line block ×3, first 2 shown]
	v_add_nc_u32_e32 v6, v5, v6
	ds_store_2addr_b32 v2, v7, v10 offset1:1
	ds_store_2addr_b32 v2, v11, v8 offset0:2 offset1:3
	ds_store_2addr_b32 v2, v9, v4 offset0:4 offset1:5
	;; [unrolled: 1-line block ×3, first 2 shown]
	s_waitcnt lgkmcnt(0)
	s_barrier
	buffer_gl0_inv
	ds_load_u16 v4, v27
	ds_load_u16 v5, v28
	;; [unrolled: 1-line block ×7, first 2 shown]
	v_and_b32_e32 v11, 0xffff, v25
	v_and_b32_e32 v25, 0xffff, v26
	;; [unrolled: 1-line block ×7, first 2 shown]
	s_waitcnt lgkmcnt(6)
	v_add_nc_u32_e32 v30, v4, v11
	s_waitcnt lgkmcnt(5)
	v_add_nc_u32_e32 v29, v5, v25
	;; [unrolled: 2-line block ×7, first 2 shown]
	s_cbranch_scc0 .LBB11_3
; %bb.13:
                                        ; implicit-def: $vgpr10
                                        ; implicit-def: $vgpr9
                                        ; implicit-def: $vgpr7
                                        ; implicit-def: $vgpr5
                                        ; implicit-def: $sgpr13
.LBB11_14:
	v_lshlrev_b32_e32 v2, 2, v30
	v_lshlrev_b32_e32 v3, 2, v29
	s_barrier
	buffer_gl0_inv
	ds_store_b32 v2, v24
	ds_store_b32 v3, v23
	v_lshlrev_b32_e32 v2, 2, v28
	v_lshlrev_b32_e32 v3, 2, v27
	;; [unrolled: 1-line block ×5, first 2 shown]
	ds_store_b32 v2, v21
	ds_store_b32 v3, v19
	;; [unrolled: 1-line block ×5, first 2 shown]
	s_waitcnt lgkmcnt(0)
	s_barrier
	buffer_gl0_inv
	ds_load_2addr_b32 v[2:3], v14 offset1:1
	ds_load_2addr_b32 v[4:5], v14 offset0:2 offset1:3
	ds_load_2addr_b32 v[6:7], v14 offset0:4 offset1:5
	ds_load_b32 v8, v14 offset:24
	s_waitcnt lgkmcnt(0)
	s_barrier
	buffer_gl0_inv
	s_and_saveexec_b32 s1, s0
	s_cbranch_execz .LBB11_16
; %bb.15:
	v_mov_b32_e32 v9, 0x46e
	v_add_nc_u32_e32 v10, 0x400, v12
	ds_store_2addr_b32 v10, v9, v9 offset0:68 offset1:230
.LBB11_16:
	s_or_b32 exec_lo, exec_lo, s1
	v_lshlrev_b32_e32 v9, 2, v7
	s_mov_b32 s1, exec_lo
	s_waitcnt lgkmcnt(0)
	s_barrier
	buffer_gl0_inv
	ds_store_b32 v12, v8
	v_cmpx_ne_u32_e64 v7, v8
	s_cbranch_execz .LBB11_18
; %bb.17:
	v_add_nc_u32_e32 v10, 6, v13
	v_lshlrev_b32_e32 v8, 2, v8
	ds_store_b32 v8, v10 offset:1296
	ds_store_b32 v9, v10 offset:1944
.LBB11_18:
	s_or_b32 exec_lo, exec_lo, s1
	v_cmp_ne_u32_e32 vcc_lo, v6, v7
	v_lshlrev_b32_e32 v7, 2, v6
	s_and_saveexec_b32 s1, vcc_lo
	s_cbranch_execz .LBB11_20
; %bb.19:
	v_add_nc_u32_e32 v8, 5, v13
	ds_store_b32 v9, v8 offset:1296
	ds_store_b32 v7, v8 offset:1944
.LBB11_20:
	s_or_b32 exec_lo, exec_lo, s1
	v_cmp_ne_u32_e32 vcc_lo, v5, v6
	v_lshlrev_b32_e32 v6, 2, v5
	s_and_saveexec_b32 s1, vcc_lo
	s_cbranch_execz .LBB11_22
; %bb.21:
	v_add_nc_u32_e32 v8, 4, v13
	ds_store_b32 v7, v8 offset:1296
	ds_store_b32 v6, v8 offset:1944
.LBB11_22:
	;; [unrolled: 10-line block ×5, first 2 shown]
	s_or_b32 exec_lo, exec_lo, s1
	v_cmp_eq_u32_e32 vcc_lo, 0, v0
	s_mov_b32 s2, exec_lo
	s_waitcnt lgkmcnt(0)
	s_barrier
	buffer_gl0_inv
	v_cmpx_ne_u32_e32 0, v0
	s_cbranch_execz .LBB11_31
; %bb.29:
	v_add_nc_u32_e32 v0, -4, v12
	ds_load_b32 v4, v0
	s_waitcnt lgkmcnt(0)
	v_cmp_ne_u32_e64 s1, v4, v2
	s_delay_alu instid0(VALU_DEP_1)
	s_and_b32 exec_lo, exec_lo, s1
	s_cbranch_execz .LBB11_31
; %bb.30:
	ds_store_b32 v3, v13 offset:1296
	ds_load_b32 v0, v0
	s_waitcnt lgkmcnt(0)
	v_lshlrev_b32_e32 v0, 2, v0
	ds_store_b32 v0, v13 offset:1944
.LBB11_31:
	s_or_b32 exec_lo, exec_lo, s2
	s_waitcnt lgkmcnt(0)
	s_barrier
	buffer_gl0_inv
	s_and_saveexec_b32 s1, vcc_lo
	s_cbranch_execz .LBB11_33
; %bb.32:
	v_mov_b32_e32 v0, 0
	ds_store_b32 v3, v0 offset:1296
.LBB11_33:
	s_or_b32 exec_lo, exec_lo, s1
	s_waitcnt lgkmcnt(0)
	s_barrier
	buffer_gl0_inv
	s_and_saveexec_b32 s1, s0
	s_cbranch_execz .LBB11_35
; %bb.34:
	v_add_nc_u32_e32 v0, 0x400, v12
	ds_load_2addr_b32 v[2:3], v0 offset0:68 offset1:230
	ds_load_b32 v0, v12 offset:5216
	s_waitcnt lgkmcnt(1)
	v_sub_nc_u32_e32 v2, v3, v2
	s_waitcnt lgkmcnt(0)
	s_delay_alu instid0(VALU_DEP_1)
	v_add_nc_u32_e32 v0, v2, v0
	ds_store_b32 v12, v0 offset:5216
.LBB11_35:
	s_or_b32 exec_lo, exec_lo, s1
	s_waitcnt lgkmcnt(0)
	s_barrier
	buffer_gl0_inv
	s_and_saveexec_b32 s1, s0
	s_cbranch_execz .LBB11_37
; %bb.36:
	ds_load_b32 v3, v12 offset:5216
	v_mov_b32_e32 v2, 0
	s_delay_alu instid0(VALU_DEP_1) | instskip(NEXT) | instid1(VALU_DEP_1)
	v_lshlrev_b64 v[0:1], 2, v[1:2]
	v_add_co_u32 v0, vcc_lo, s14, v0
	s_delay_alu instid0(VALU_DEP_2)
	v_add_co_ci_u32_e32 v1, vcc_lo, s15, v1, vcc_lo
	s_waitcnt lgkmcnt(0)
	global_store_b32 v[0:1], v3, off
.LBB11_37:
	s_nop 0
	s_sendmsg sendmsg(MSG_DEALLOC_VGPRS)
	s_endpgm
	.section	.rodata,"a",@progbits
	.p2align	6, 0x0
	.amdhsa_kernel _Z16histogram_kernelILj162ELj7ELj162ELN6hipcub23BlockHistogramAlgorithmE1EjEvPT3_S3_
		.amdhsa_group_segment_fixed_size 5864
		.amdhsa_private_segment_fixed_size 0
		.amdhsa_kernarg_size 16
		.amdhsa_user_sgpr_count 15
		.amdhsa_user_sgpr_dispatch_ptr 0
		.amdhsa_user_sgpr_queue_ptr 0
		.amdhsa_user_sgpr_kernarg_segment_ptr 1
		.amdhsa_user_sgpr_dispatch_id 0
		.amdhsa_user_sgpr_private_segment_size 0
		.amdhsa_wavefront_size32 1
		.amdhsa_uses_dynamic_stack 0
		.amdhsa_enable_private_segment 0
		.amdhsa_system_sgpr_workgroup_id_x 1
		.amdhsa_system_sgpr_workgroup_id_y 0
		.amdhsa_system_sgpr_workgroup_id_z 0
		.amdhsa_system_sgpr_workgroup_info 0
		.amdhsa_system_vgpr_workitem_id 0
		.amdhsa_next_free_vgpr 41
		.amdhsa_next_free_sgpr 17
		.amdhsa_reserve_vcc 1
		.amdhsa_float_round_mode_32 0
		.amdhsa_float_round_mode_16_64 0
		.amdhsa_float_denorm_mode_32 3
		.amdhsa_float_denorm_mode_16_64 3
		.amdhsa_dx10_clamp 1
		.amdhsa_ieee_mode 1
		.amdhsa_fp16_overflow 0
		.amdhsa_workgroup_processor_mode 1
		.amdhsa_memory_ordered 1
		.amdhsa_forward_progress 0
		.amdhsa_shared_vgpr_count 0
		.amdhsa_exception_fp_ieee_invalid_op 0
		.amdhsa_exception_fp_denorm_src 0
		.amdhsa_exception_fp_ieee_div_zero 0
		.amdhsa_exception_fp_ieee_overflow 0
		.amdhsa_exception_fp_ieee_underflow 0
		.amdhsa_exception_fp_ieee_inexact 0
		.amdhsa_exception_int_div_zero 0
	.end_amdhsa_kernel
	.section	.text._Z16histogram_kernelILj162ELj7ELj162ELN6hipcub23BlockHistogramAlgorithmE1EjEvPT3_S3_,"axG",@progbits,_Z16histogram_kernelILj162ELj7ELj162ELN6hipcub23BlockHistogramAlgorithmE1EjEvPT3_S3_,comdat
.Lfunc_end11:
	.size	_Z16histogram_kernelILj162ELj7ELj162ELN6hipcub23BlockHistogramAlgorithmE1EjEvPT3_S3_, .Lfunc_end11-_Z16histogram_kernelILj162ELj7ELj162ELN6hipcub23BlockHistogramAlgorithmE1EjEvPT3_S3_
                                        ; -- End function
	.section	.AMDGPU.csdata,"",@progbits
; Kernel info:
; codeLenInByte = 2828
; NumSgprs: 19
; NumVgprs: 41
; ScratchSize: 0
; MemoryBound: 0
; FloatMode: 240
; IeeeMode: 1
; LDSByteSize: 5864 bytes/workgroup (compile time only)
; SGPRBlocks: 2
; VGPRBlocks: 5
; NumSGPRsForWavesPerEU: 19
; NumVGPRsForWavesPerEU: 41
; Occupancy: 15
; WaveLimiterHint : 0
; COMPUTE_PGM_RSRC2:SCRATCH_EN: 0
; COMPUTE_PGM_RSRC2:USER_SGPR: 15
; COMPUTE_PGM_RSRC2:TRAP_HANDLER: 0
; COMPUTE_PGM_RSRC2:TGID_X_EN: 1
; COMPUTE_PGM_RSRC2:TGID_Y_EN: 0
; COMPUTE_PGM_RSRC2:TGID_Z_EN: 0
; COMPUTE_PGM_RSRC2:TIDIG_COMP_CNT: 0
	.section	.text._Z16histogram_kernelILj65ELj5ELj65ELN6hipcub23BlockHistogramAlgorithmE1EjEvPT3_S3_,"axG",@progbits,_Z16histogram_kernelILj65ELj5ELj65ELN6hipcub23BlockHistogramAlgorithmE1EjEvPT3_S3_,comdat
	.protected	_Z16histogram_kernelILj65ELj5ELj65ELN6hipcub23BlockHistogramAlgorithmE1EjEvPT3_S3_ ; -- Begin function _Z16histogram_kernelILj65ELj5ELj65ELN6hipcub23BlockHistogramAlgorithmE1EjEvPT3_S3_
	.globl	_Z16histogram_kernelILj65ELj5ELj65ELN6hipcub23BlockHistogramAlgorithmE1EjEvPT3_S3_
	.p2align	8
	.type	_Z16histogram_kernelILj65ELj5ELj65ELN6hipcub23BlockHistogramAlgorithmE1EjEvPT3_S3_,@function
_Z16histogram_kernelILj65ELj5ELj65ELN6hipcub23BlockHistogramAlgorithmE1EjEvPT3_S3_: ; @_Z16histogram_kernelILj65ELj5ELj65ELN6hipcub23BlockHistogramAlgorithmE1EjEvPT3_S3_
; %bb.0:
	v_mad_u64_u32 v[1:2], null, 0x41, s15, v[0:1]
	s_load_b128 s[12:15], s[0:1], 0x0
	v_cmp_gt_u32_e64 s0, 0x41, v0
	s_delay_alu instid0(VALU_DEP_2) | instskip(NEXT) | instid1(VALU_DEP_1)
	v_lshl_add_u32 v2, v1, 2, v1
	v_dual_mov_b32 v3, 0 :: v_dual_add_nc_u32 v4, 1, v2
	s_delay_alu instid0(VALU_DEP_1) | instskip(SKIP_2) | instid1(VALU_DEP_3)
	v_dual_mov_b32 v5, v3 :: v_dual_add_nc_u32 v6, 2, v2
	v_lshlrev_b64 v[10:11], 2, v[2:3]
	v_dual_mov_b32 v7, v3 :: v_dual_add_nc_u32 v8, 3, v2
	v_lshlrev_b64 v[4:5], 2, v[4:5]
	v_dual_mov_b32 v9, v3 :: v_dual_add_nc_u32 v2, 4, v2
	s_delay_alu instid0(VALU_DEP_3)
	v_lshlrev_b64 v[6:7], 2, v[6:7]
	s_waitcnt lgkmcnt(0)
	v_add_co_u32 v10, vcc_lo, s12, v10
	v_add_co_ci_u32_e32 v11, vcc_lo, s13, v11, vcc_lo
	v_lshlrev_b64 v[8:9], 2, v[8:9]
	v_add_co_u32 v12, vcc_lo, s12, v4
	v_add_co_ci_u32_e32 v13, vcc_lo, s13, v5, vcc_lo
	v_add_co_u32 v6, vcc_lo, s12, v6
	v_lshlrev_b64 v[4:5], 2, v[2:3]
	v_add_co_ci_u32_e32 v7, vcc_lo, s13, v7, vcc_lo
	v_add_co_u32 v8, vcc_lo, s12, v8
	v_add_co_ci_u32_e32 v9, vcc_lo, s13, v9, vcc_lo
	s_delay_alu instid0(VALU_DEP_4)
	v_add_co_u32 v14, vcc_lo, s12, v4
	v_add_co_ci_u32_e32 v15, vcc_lo, s13, v5, vcc_lo
	s_clause 0x4
	global_load_b32 v4, v[10:11], off
	global_load_b32 v5, v[12:13], off
	;; [unrolled: 1-line block ×5, first 2 shown]
	v_lshlrev_b32_e32 v12, 2, v0
	s_mov_b32 s13, 0
	s_and_saveexec_b32 s1, s0
	s_cbranch_execz .LBB12_2
; %bb.1:
	ds_store_b32 v12, v3 offset:2096
.LBB12_2:
	s_or_b32 exec_lo, exec_lo, s1
	v_mbcnt_lo_u32_b32 v9, -1, 0
	v_and_b32_e32 v2, 0x60, v0
	v_cmp_gt_u32_e64 s1, 0x208, v0
	v_cmp_gt_u32_e64 s8, 3, v0
	v_cmp_lt_u32_e64 s9, 31, v0
	v_add_nc_u32_e32 v14, -1, v9
	v_min_u32_e32 v11, 33, v2
	v_and_b32_e32 v10, 15, v9
	v_and_b32_e32 v13, 16, v9
	v_lshlrev_b32_e32 v2, 5, v0
	v_cmp_gt_i32_e32 vcc_lo, 0, v14
	v_add_nc_u32_e32 v11, 31, v11
	v_cmp_eq_u32_e64 s2, 0, v10
	v_cmp_lt_u32_e64 s3, 1, v10
	v_cmp_lt_u32_e64 s4, 3, v10
	;; [unrolled: 1-line block ×3, first 2 shown]
	v_cndmask_b32_e32 v10, v14, v9, vcc_lo
	v_cmp_eq_u32_e64 s6, 0, v13
	v_cmp_eq_u32_e64 s7, v11, v0
	v_lshrrev_b32_e32 v11, 3, v0
	v_and_b32_e32 v14, 3, v9
	v_mul_u32_u24_e32 v13, 5, v0
	v_lshlrev_b32_e32 v15, 2, v10
	v_cmp_eq_u32_e64 s10, 0, v9
	v_and_b32_e32 v17, 12, v11
	v_cmp_eq_u32_e64 s11, 0, v14
	v_cmp_lt_u32_e64 s12, 1, v14
	v_lshlrev_b32_e32 v14, 2, v13
	v_add_nc_u32_e32 v21, 0xffffffbf, v0
	s_waitcnt vmcnt(0) lgkmcnt(0)
	s_barrier
	buffer_gl0_inv
	s_branch .LBB12_4
.LBB12_3:                               ;   in Loop: Header=BB12_4 Depth=1
	v_lshlrev_b32_e32 v4, 2, v24
	v_lshlrev_b32_e32 v5, 2, v23
	;; [unrolled: 1-line block ×5, first 2 shown]
	s_barrier
	buffer_gl0_inv
	ds_store_b32 v4, v22
	ds_store_b32 v5, v20
	;; [unrolled: 1-line block ×5, first 2 shown]
	s_waitcnt lgkmcnt(0)
	s_barrier
	buffer_gl0_inv
	ds_load_2addr_b32 v[4:5], v14 offset1:1
	ds_load_2addr_b32 v[6:7], v14 offset0:2 offset1:3
	ds_load_b32 v8, v14 offset:16
	s_add_i32 s13, s13, 4
	s_waitcnt lgkmcnt(0)
	s_barrier
	buffer_gl0_inv
	s_cbranch_execz .LBB12_15
.LBB12_4:                               ; =>This Loop Header: Depth=1
                                        ;     Child Loop BB12_6 Depth 2
	v_dual_mov_b32 v16, v8 :: v_dual_mov_b32 v19, v6
	v_mov_b32_e32 v18, v7
	v_mov_b32_e32 v20, v5
	;; [unrolled: 1-line block ×3, first 2 shown]
	s_and_saveexec_b32 s16, s1
	s_cbranch_execz .LBB12_7
; %bb.5:                                ;   in Loop: Header=BB12_4 Depth=1
	v_dual_mov_b32 v4, v21 :: v_dual_mov_b32 v5, v12
	s_mov_b32 s17, 0
.LBB12_6:                               ;   Parent Loop BB12_4 Depth=1
                                        ; =>  This Inner Loop Header: Depth=2
	s_delay_alu instid0(VALU_DEP_1) | instskip(SKIP_4) | instid1(SALU_CYCLE_1)
	v_add_nc_u32_e32 v4, 0x41, v4
	ds_store_b32 v5, v3
	v_add_nc_u32_e32 v5, 0x104, v5
	v_cmp_lt_u32_e32 vcc_lo, 0x1c6, v4
	s_or_b32 s17, vcc_lo, s17
	s_and_not1_b32 exec_lo, exec_lo, s17
	s_cbranch_execnz .LBB12_6
.LBB12_7:                               ;   in Loop: Header=BB12_4 Depth=1
	s_or_b32 exec_lo, exec_lo, s16
	s_delay_alu instid0(VALU_DEP_1) | instskip(SKIP_1) | instid1(VALU_DEP_2)
	v_lshrrev_b32_e32 v4, s13, v22
	v_bfe_u32 v5, v22, s13, 3
	v_lshrrev_b32_e32 v4, 2, v4
	s_delay_alu instid0(VALU_DEP_2) | instskip(NEXT) | instid1(VALU_DEP_2)
	v_mad_u32_u24 v5, 0x41, v5, v0
	v_and_b32_e32 v4, 2, v4
	s_delay_alu instid0(VALU_DEP_1)
	v_lshl_or_b32 v24, v5, 2, v4
	v_lshrrev_b32_e32 v4, s13, v20
	v_bfe_u32 v5, v20, s13, 3
	ds_load_u16 v23, v24
	v_lshrrev_b32_e32 v4, 2, v4
	v_mad_u32_u24 v5, 0x41, v5, v0
	s_delay_alu instid0(VALU_DEP_2) | instskip(NEXT) | instid1(VALU_DEP_1)
	v_and_b32_e32 v4, 2, v4
	v_lshl_or_b32 v26, v5, 2, v4
	v_lshrrev_b32_e32 v4, s13, v19
	v_bfe_u32 v5, v19, s13, 3
	s_delay_alu instid0(VALU_DEP_2) | instskip(NEXT) | instid1(VALU_DEP_2)
	v_lshrrev_b32_e32 v4, 2, v4
	v_mad_u32_u24 v5, 0x41, v5, v0
	s_waitcnt lgkmcnt(0)
	v_add_nc_u16 v6, v23, 1
	s_delay_alu instid0(VALU_DEP_3)
	v_and_b32_e32 v4, 2, v4
	ds_store_b16 v24, v6
	ds_load_u16 v25, v26
	v_lshl_or_b32 v28, v5, 2, v4
	v_lshrrev_b32_e32 v4, s13, v18
	v_bfe_u32 v5, v18, s13, 3
	s_delay_alu instid0(VALU_DEP_2) | instskip(NEXT) | instid1(VALU_DEP_2)
	v_lshrrev_b32_e32 v4, 2, v4
	v_mad_u32_u24 v5, 0x41, v5, v0
	s_delay_alu instid0(VALU_DEP_2) | instskip(NEXT) | instid1(VALU_DEP_1)
	v_and_b32_e32 v4, 2, v4
	v_lshl_or_b32 v30, v5, 2, v4
	v_lshrrev_b32_e32 v4, s13, v16
	v_bfe_u32 v5, v16, s13, 3
	s_waitcnt lgkmcnt(0)
	v_add_nc_u16 v6, v25, 1
	s_delay_alu instid0(VALU_DEP_3) | instskip(NEXT) | instid1(VALU_DEP_3)
	v_lshrrev_b32_e32 v4, 2, v4
	v_mad_u32_u24 v5, 0x41, v5, v0
	ds_store_b16 v26, v6
	ds_load_u16 v27, v28
	v_and_b32_e32 v4, 2, v4
	s_delay_alu instid0(VALU_DEP_1)
	v_lshl_or_b32 v32, v5, 2, v4
	s_waitcnt lgkmcnt(0)
	v_add_nc_u16 v6, v27, 1
	ds_store_b16 v28, v6
	ds_load_u16 v29, v30
	s_waitcnt lgkmcnt(0)
	v_add_nc_u16 v6, v29, 1
	ds_store_b16 v30, v6
	ds_load_u16 v31, v32
	s_waitcnt lgkmcnt(0)
	v_add_nc_u16 v4, v31, 1
	ds_store_b16 v32, v4
	s_waitcnt lgkmcnt(0)
	s_barrier
	buffer_gl0_inv
	ds_load_2addr_b32 v[10:11], v2 offset1:1
	ds_load_2addr_b32 v[8:9], v2 offset0:2 offset1:3
	ds_load_2addr_b32 v[4:5], v2 offset0:4 offset1:5
	;; [unrolled: 1-line block ×3, first 2 shown]
	s_waitcnt lgkmcnt(3)
	v_add_nc_u32_e32 v33, v11, v10
	s_waitcnt lgkmcnt(2)
	s_delay_alu instid0(VALU_DEP_1) | instskip(SKIP_1) | instid1(VALU_DEP_1)
	v_add3_u32 v33, v33, v8, v9
	s_waitcnt lgkmcnt(1)
	v_add3_u32 v33, v33, v4, v5
	s_waitcnt lgkmcnt(0)
	s_delay_alu instid0(VALU_DEP_1) | instskip(NEXT) | instid1(VALU_DEP_1)
	v_add3_u32 v7, v33, v6, v7
	v_mov_b32_dpp v33, v7 row_shr:1 row_mask:0xf bank_mask:0xf
	s_delay_alu instid0(VALU_DEP_1) | instskip(NEXT) | instid1(VALU_DEP_1)
	v_cndmask_b32_e64 v33, v33, 0, s2
	v_add_nc_u32_e32 v7, v33, v7
	s_delay_alu instid0(VALU_DEP_1) | instskip(NEXT) | instid1(VALU_DEP_1)
	v_mov_b32_dpp v33, v7 row_shr:2 row_mask:0xf bank_mask:0xf
	v_cndmask_b32_e64 v33, 0, v33, s3
	s_delay_alu instid0(VALU_DEP_1) | instskip(NEXT) | instid1(VALU_DEP_1)
	v_add_nc_u32_e32 v7, v7, v33
	v_mov_b32_dpp v33, v7 row_shr:4 row_mask:0xf bank_mask:0xf
	s_delay_alu instid0(VALU_DEP_1) | instskip(NEXT) | instid1(VALU_DEP_1)
	v_cndmask_b32_e64 v33, 0, v33, s4
	v_add_nc_u32_e32 v7, v7, v33
	s_delay_alu instid0(VALU_DEP_1) | instskip(NEXT) | instid1(VALU_DEP_1)
	v_mov_b32_dpp v33, v7 row_shr:8 row_mask:0xf bank_mask:0xf
	v_cndmask_b32_e64 v33, 0, v33, s5
	s_delay_alu instid0(VALU_DEP_1) | instskip(SKIP_3) | instid1(VALU_DEP_1)
	v_add_nc_u32_e32 v7, v7, v33
	ds_swizzle_b32 v33, v7 offset:swizzle(BROADCAST,32,15)
	s_waitcnt lgkmcnt(0)
	v_cndmask_b32_e64 v33, v33, 0, s6
	v_add_nc_u32_e32 v7, v7, v33
	s_and_saveexec_b32 s16, s7
	s_cbranch_execz .LBB12_9
; %bb.8:                                ;   in Loop: Header=BB12_4 Depth=1
	ds_store_b32 v17, v7 offset:2080
.LBB12_9:                               ;   in Loop: Header=BB12_4 Depth=1
	s_or_b32 exec_lo, exec_lo, s16
	s_waitcnt lgkmcnt(0)
	s_barrier
	buffer_gl0_inv
	s_and_saveexec_b32 s16, s8
	s_cbranch_execz .LBB12_11
; %bb.10:                               ;   in Loop: Header=BB12_4 Depth=1
	ds_load_b32 v33, v12 offset:2080
	s_waitcnt lgkmcnt(0)
	v_mov_b32_dpp v34, v33 row_shr:1 row_mask:0xf bank_mask:0xf
	s_delay_alu instid0(VALU_DEP_1) | instskip(NEXT) | instid1(VALU_DEP_1)
	v_cndmask_b32_e64 v34, v34, 0, s11
	v_add_nc_u32_e32 v33, v34, v33
	s_delay_alu instid0(VALU_DEP_1) | instskip(NEXT) | instid1(VALU_DEP_1)
	v_mov_b32_dpp v34, v33 row_shr:2 row_mask:0xf bank_mask:0xf
	v_cndmask_b32_e64 v34, 0, v34, s12
	s_delay_alu instid0(VALU_DEP_1)
	v_add_nc_u32_e32 v33, v33, v34
	ds_store_b32 v12, v33 offset:2080
.LBB12_11:                              ;   in Loop: Header=BB12_4 Depth=1
	s_or_b32 exec_lo, exec_lo, s16
	v_mov_b32_e32 v33, 0
	s_waitcnt lgkmcnt(0)
	s_barrier
	buffer_gl0_inv
	s_and_saveexec_b32 s16, s9
	s_cbranch_execz .LBB12_13
; %bb.12:                               ;   in Loop: Header=BB12_4 Depth=1
	ds_load_b32 v33, v17 offset:2076
.LBB12_13:                              ;   in Loop: Header=BB12_4 Depth=1
	s_or_b32 exec_lo, exec_lo, s16
	s_waitcnt lgkmcnt(0)
	v_add_nc_u32_e32 v7, v33, v7
	ds_load_b32 v34, v3 offset:2088
	s_cmp_gt_u32 s13, 27
	ds_bpermute_b32 v7, v15, v7
	s_waitcnt lgkmcnt(0)
	v_cndmask_b32_e64 v7, v7, v33, s10
	s_delay_alu instid0(VALU_DEP_1) | instskip(NEXT) | instid1(VALU_DEP_1)
	v_lshl_add_u32 v7, v34, 16, v7
	v_add_nc_u32_e32 v10, v7, v10
	s_delay_alu instid0(VALU_DEP_1) | instskip(NEXT) | instid1(VALU_DEP_1)
	v_add_nc_u32_e32 v11, v10, v11
	v_add_nc_u32_e32 v8, v11, v8
	s_delay_alu instid0(VALU_DEP_1) | instskip(NEXT) | instid1(VALU_DEP_1)
	v_add_nc_u32_e32 v9, v8, v9
	;; [unrolled: 3-line block ×3, first 2 shown]
	v_add_nc_u32_e32 v6, v5, v6
	ds_store_2addr_b32 v2, v7, v10 offset1:1
	ds_store_2addr_b32 v2, v11, v8 offset0:2 offset1:3
	ds_store_2addr_b32 v2, v9, v4 offset0:4 offset1:5
	;; [unrolled: 1-line block ×3, first 2 shown]
	s_waitcnt lgkmcnt(0)
	s_barrier
	buffer_gl0_inv
	ds_load_u16 v4, v24
	ds_load_u16 v5, v26
	;; [unrolled: 1-line block ×5, first 2 shown]
	v_and_b32_e32 v9, 0xffff, v23
	v_and_b32_e32 v10, 0xffff, v25
	;; [unrolled: 1-line block ×5, first 2 shown]
	s_waitcnt lgkmcnt(4)
	v_add_nc_u32_e32 v24, v4, v9
	s_waitcnt lgkmcnt(3)
	v_add_nc_u32_e32 v23, v5, v10
	;; [unrolled: 2-line block ×5, first 2 shown]
	s_cbranch_scc0 .LBB12_3
; %bb.14:
                                        ; implicit-def: $vgpr8
                                        ; implicit-def: $vgpr7
                                        ; implicit-def: $vgpr5
                                        ; implicit-def: $sgpr13
.LBB12_15:
	v_lshlrev_b32_e32 v2, 2, v24
	v_lshlrev_b32_e32 v3, 2, v23
	;; [unrolled: 1-line block ×5, first 2 shown]
	s_barrier
	buffer_gl0_inv
	ds_store_b32 v2, v22
	ds_store_b32 v3, v20
	;; [unrolled: 1-line block ×5, first 2 shown]
	s_waitcnt lgkmcnt(0)
	s_barrier
	buffer_gl0_inv
	ds_load_2addr_b32 v[2:3], v14 offset1:1
	ds_load_2addr_b32 v[4:5], v14 offset0:2 offset1:3
	ds_load_b32 v6, v14 offset:16
	s_waitcnt lgkmcnt(0)
	s_barrier
	buffer_gl0_inv
	s_and_saveexec_b32 s1, s0
	s_cbranch_execz .LBB12_17
; %bb.16:
	v_mov_b32_e32 v7, 0x145
	ds_store_2addr_b32 v12, v7, v7 offset0:130 offset1:195
.LBB12_17:
	s_or_b32 exec_lo, exec_lo, s1
	v_lshlrev_b32_e32 v7, 2, v5
	s_mov_b32 s1, exec_lo
	s_waitcnt lgkmcnt(0)
	s_barrier
	buffer_gl0_inv
	ds_store_b32 v12, v6
	v_cmpx_ne_u32_e64 v5, v6
	s_cbranch_execz .LBB12_19
; %bb.18:
	v_add_nc_u32_e32 v8, 4, v13
	v_lshlrev_b32_e32 v6, 2, v6
	ds_store_b32 v6, v8 offset:520
	ds_store_b32 v7, v8 offset:780
.LBB12_19:
	s_or_b32 exec_lo, exec_lo, s1
	v_cmp_ne_u32_e32 vcc_lo, v4, v5
	v_lshlrev_b32_e32 v5, 2, v4
	s_and_saveexec_b32 s1, vcc_lo
	s_cbranch_execz .LBB12_21
; %bb.20:
	v_add_nc_u32_e32 v6, 3, v13
	ds_store_b32 v7, v6 offset:520
	ds_store_b32 v5, v6 offset:780
.LBB12_21:
	s_or_b32 exec_lo, exec_lo, s1
	v_cmp_ne_u32_e32 vcc_lo, v3, v4
	v_lshlrev_b32_e32 v4, 2, v3
	s_and_saveexec_b32 s1, vcc_lo
	s_cbranch_execz .LBB12_23
; %bb.22:
	v_add_nc_u32_e32 v6, 2, v13
	ds_store_b32 v5, v6 offset:520
	ds_store_b32 v4, v6 offset:780
.LBB12_23:
	;; [unrolled: 10-line block ×3, first 2 shown]
	s_or_b32 exec_lo, exec_lo, s1
	v_cmp_eq_u32_e32 vcc_lo, 0, v0
	s_mov_b32 s2, exec_lo
	s_waitcnt lgkmcnt(0)
	s_barrier
	buffer_gl0_inv
	v_cmpx_ne_u32_e32 0, v0
	s_cbranch_execz .LBB12_28
; %bb.26:
	v_add_nc_u32_e32 v0, -4, v12
	ds_load_b32 v4, v0
	s_waitcnt lgkmcnt(0)
	v_cmp_ne_u32_e64 s1, v4, v2
	s_delay_alu instid0(VALU_DEP_1)
	s_and_b32 exec_lo, exec_lo, s1
	s_cbranch_execz .LBB12_28
; %bb.27:
	ds_store_b32 v3, v13 offset:520
	ds_load_b32 v0, v0
	s_waitcnt lgkmcnt(0)
	v_lshlrev_b32_e32 v0, 2, v0
	ds_store_b32 v0, v13 offset:780
.LBB12_28:
	s_or_b32 exec_lo, exec_lo, s2
	s_waitcnt lgkmcnt(0)
	s_barrier
	buffer_gl0_inv
	s_and_saveexec_b32 s1, vcc_lo
	s_cbranch_execz .LBB12_30
; %bb.29:
	v_mov_b32_e32 v0, 0
	ds_store_b32 v3, v0 offset:520
.LBB12_30:
	s_or_b32 exec_lo, exec_lo, s1
	s_waitcnt lgkmcnt(0)
	s_barrier
	buffer_gl0_inv
	s_and_saveexec_b32 s1, s0
	s_cbranch_execz .LBB12_32
; %bb.31:
	ds_load_2addr_b32 v[2:3], v12 offset0:130 offset1:195
	ds_load_b32 v0, v12 offset:2096
	s_waitcnt lgkmcnt(1)
	v_sub_nc_u32_e32 v2, v3, v2
	s_waitcnt lgkmcnt(0)
	s_delay_alu instid0(VALU_DEP_1)
	v_add_nc_u32_e32 v0, v2, v0
	ds_store_b32 v12, v0 offset:2096
.LBB12_32:
	s_or_b32 exec_lo, exec_lo, s1
	s_waitcnt lgkmcnt(0)
	s_barrier
	buffer_gl0_inv
	s_and_saveexec_b32 s1, s0
	s_cbranch_execz .LBB12_34
; %bb.33:
	ds_load_b32 v3, v12 offset:2096
	v_mov_b32_e32 v2, 0
	s_delay_alu instid0(VALU_DEP_1) | instskip(NEXT) | instid1(VALU_DEP_1)
	v_lshlrev_b64 v[0:1], 2, v[1:2]
	v_add_co_u32 v0, vcc_lo, s14, v0
	s_delay_alu instid0(VALU_DEP_2)
	v_add_co_ci_u32_e32 v1, vcc_lo, s15, v1, vcc_lo
	s_waitcnt lgkmcnt(0)
	global_store_b32 v[0:1], v3, off
.LBB12_34:
	s_nop 0
	s_sendmsg sendmsg(MSG_DEALLOC_VGPRS)
	s_endpgm
	.section	.rodata,"a",@progbits
	.p2align	6, 0x0
	.amdhsa_kernel _Z16histogram_kernelILj65ELj5ELj65ELN6hipcub23BlockHistogramAlgorithmE1EjEvPT3_S3_
		.amdhsa_group_segment_fixed_size 2356
		.amdhsa_private_segment_fixed_size 0
		.amdhsa_kernarg_size 16
		.amdhsa_user_sgpr_count 15
		.amdhsa_user_sgpr_dispatch_ptr 0
		.amdhsa_user_sgpr_queue_ptr 0
		.amdhsa_user_sgpr_kernarg_segment_ptr 1
		.amdhsa_user_sgpr_dispatch_id 0
		.amdhsa_user_sgpr_private_segment_size 0
		.amdhsa_wavefront_size32 1
		.amdhsa_uses_dynamic_stack 0
		.amdhsa_enable_private_segment 0
		.amdhsa_system_sgpr_workgroup_id_x 1
		.amdhsa_system_sgpr_workgroup_id_y 0
		.amdhsa_system_sgpr_workgroup_id_z 0
		.amdhsa_system_sgpr_workgroup_info 0
		.amdhsa_system_vgpr_workitem_id 0
		.amdhsa_next_free_vgpr 35
		.amdhsa_next_free_sgpr 18
		.amdhsa_reserve_vcc 1
		.amdhsa_float_round_mode_32 0
		.amdhsa_float_round_mode_16_64 0
		.amdhsa_float_denorm_mode_32 3
		.amdhsa_float_denorm_mode_16_64 3
		.amdhsa_dx10_clamp 1
		.amdhsa_ieee_mode 1
		.amdhsa_fp16_overflow 0
		.amdhsa_workgroup_processor_mode 1
		.amdhsa_memory_ordered 1
		.amdhsa_forward_progress 0
		.amdhsa_shared_vgpr_count 0
		.amdhsa_exception_fp_ieee_invalid_op 0
		.amdhsa_exception_fp_denorm_src 0
		.amdhsa_exception_fp_ieee_div_zero 0
		.amdhsa_exception_fp_ieee_overflow 0
		.amdhsa_exception_fp_ieee_underflow 0
		.amdhsa_exception_fp_ieee_inexact 0
		.amdhsa_exception_int_div_zero 0
	.end_amdhsa_kernel
	.section	.text._Z16histogram_kernelILj65ELj5ELj65ELN6hipcub23BlockHistogramAlgorithmE1EjEvPT3_S3_,"axG",@progbits,_Z16histogram_kernelILj65ELj5ELj65ELN6hipcub23BlockHistogramAlgorithmE1EjEvPT3_S3_,comdat
.Lfunc_end12:
	.size	_Z16histogram_kernelILj65ELj5ELj65ELN6hipcub23BlockHistogramAlgorithmE1EjEvPT3_S3_, .Lfunc_end12-_Z16histogram_kernelILj65ELj5ELj65ELN6hipcub23BlockHistogramAlgorithmE1EjEvPT3_S3_
                                        ; -- End function
	.section	.AMDGPU.csdata,"",@progbits
; Kernel info:
; codeLenInByte = 2376
; NumSgprs: 20
; NumVgprs: 35
; ScratchSize: 0
; MemoryBound: 0
; FloatMode: 240
; IeeeMode: 1
; LDSByteSize: 2356 bytes/workgroup (compile time only)
; SGPRBlocks: 2
; VGPRBlocks: 4
; NumSGPRsForWavesPerEU: 20
; NumVGPRsForWavesPerEU: 35
; Occupancy: 16
; WaveLimiterHint : 0
; COMPUTE_PGM_RSRC2:SCRATCH_EN: 0
; COMPUTE_PGM_RSRC2:USER_SGPR: 15
; COMPUTE_PGM_RSRC2:TRAP_HANDLER: 0
; COMPUTE_PGM_RSRC2:TGID_X_EN: 1
; COMPUTE_PGM_RSRC2:TGID_Y_EN: 0
; COMPUTE_PGM_RSRC2:TGID_Z_EN: 0
; COMPUTE_PGM_RSRC2:TIDIG_COMP_CNT: 0
	.section	.text._Z16histogram_kernelILj37ELj2ELj37ELN6hipcub23BlockHistogramAlgorithmE1EjEvPT3_S3_,"axG",@progbits,_Z16histogram_kernelILj37ELj2ELj37ELN6hipcub23BlockHistogramAlgorithmE1EjEvPT3_S3_,comdat
	.protected	_Z16histogram_kernelILj37ELj2ELj37ELN6hipcub23BlockHistogramAlgorithmE1EjEvPT3_S3_ ; -- Begin function _Z16histogram_kernelILj37ELj2ELj37ELN6hipcub23BlockHistogramAlgorithmE1EjEvPT3_S3_
	.globl	_Z16histogram_kernelILj37ELj2ELj37ELN6hipcub23BlockHistogramAlgorithmE1EjEvPT3_S3_
	.p2align	8
	.type	_Z16histogram_kernelILj37ELj2ELj37ELN6hipcub23BlockHistogramAlgorithmE1EjEvPT3_S3_,@function
_Z16histogram_kernelILj37ELj2ELj37ELN6hipcub23BlockHistogramAlgorithmE1EjEvPT3_S3_: ; @_Z16histogram_kernelILj37ELj2ELj37ELN6hipcub23BlockHistogramAlgorithmE1EjEvPT3_S3_
; %bb.0:
	s_load_b128 s[16:19], s[0:1], 0x0
	v_mad_u64_u32 v[1:2], null, s15, 37, v[0:1]
	v_mov_b32_e32 v3, 0
	v_cmp_gt_u32_e64 s0, 37, v0
	v_lshlrev_b32_e32 v12, 2, v0
	s_delay_alu instid0(VALU_DEP_4) | instskip(NEXT) | instid1(VALU_DEP_1)
	v_lshlrev_b32_e32 v2, 1, v1
	v_lshlrev_b64 v[4:5], 2, v[2:3]
	s_waitcnt lgkmcnt(0)
	s_delay_alu instid0(VALU_DEP_1) | instskip(NEXT) | instid1(VALU_DEP_2)
	v_add_co_u32 v4, vcc_lo, s16, v4
	v_add_co_ci_u32_e32 v5, vcc_lo, s17, v5, vcc_lo
	global_load_b64 v[4:5], v[4:5], off
	s_and_saveexec_b32 s1, s0
	s_cbranch_execz .LBB13_2
; %bb.1:
	ds_store_b32 v12, v3 offset:1200
.LBB13_2:
	s_or_b32 exec_lo, exec_lo, s1
	v_mbcnt_lo_u32_b32 v6, -1, 0
	v_and_b32_e32 v7, 32, v0
	v_cmp_gt_u32_e64 s1, 0x128, v0
	v_lshlrev_b32_e32 v14, 5, v0
	v_cmp_gt_u32_e64 s8, 2, v0
	v_add_nc_u32_e32 v10, -1, v6
	v_min_u32_e32 v7, 5, v7
	v_and_b32_e32 v8, 15, v6
	v_and_b32_e32 v9, 16, v6
	v_cmp_lt_u32_e64 s9, 31, v0
	v_cmp_gt_i32_e32 vcc_lo, 0, v10
	v_add_nc_u32_e32 v7, 31, v7
	v_lshlrev_b32_e32 v2, 3, v0
	v_cmp_eq_u32_e64 s2, 0, v8
	v_cmp_lt_u32_e64 s3, 1, v8
	v_cmp_lt_u32_e64 s4, 3, v8
	;; [unrolled: 1-line block ×3, first 2 shown]
	v_cmp_eq_u32_e64 s6, 0, v9
	v_cmp_eq_u32_e64 s7, v7, v0
	v_cndmask_b32_e32 v7, v10, v6, vcc_lo
	v_lshrrev_b32_e32 v8, 3, v0
	v_and_b32_e32 v9, 1, v6
	v_cmp_eq_u32_e64 s10, 0, v6
	v_lshlrev_b32_e32 v13, 1, v0
	v_lshlrev_b32_e32 v15, 2, v7
	v_and_b32_e32 v16, 4, v8
	v_cmp_eq_u32_e64 s11, 0, v9
	v_subrev_nc_u32_e32 v19, 37, v0
	s_mov_b32 s12, 0
	s_waitcnt vmcnt(0) lgkmcnt(0)
	s_barrier
	buffer_gl0_inv
	s_branch .LBB13_4
.LBB13_3:                               ;   in Loop: Header=BB13_4 Depth=1
	s_delay_alu instid0(VALU_DEP_2) | instskip(NEXT) | instid1(VALU_DEP_2)
	v_lshlrev_b32_e32 v4, 2, v7
	v_lshlrev_b32_e32 v5, 2, v6
	s_barrier
	buffer_gl0_inv
	ds_store_b32 v4, v18
	ds_store_b32 v5, v17
	s_waitcnt lgkmcnt(0)
	s_barrier
	buffer_gl0_inv
	ds_load_2addr_b32 v[4:5], v2 offset1:1
	s_add_i32 s12, s12, 4
	s_waitcnt lgkmcnt(0)
	s_barrier
	buffer_gl0_inv
	s_cbranch_execz .LBB13_15
.LBB13_4:                               ; =>This Loop Header: Depth=1
                                        ;     Child Loop BB13_6 Depth 2
	v_dual_mov_b32 v17, v5 :: v_dual_mov_b32 v18, v4
	s_and_saveexec_b32 s13, s1
	s_cbranch_execz .LBB13_7
; %bb.5:                                ;   in Loop: Header=BB13_4 Depth=1
	v_dual_mov_b32 v4, v19 :: v_dual_mov_b32 v5, v12
	s_mov_b32 s14, 0
.LBB13_6:                               ;   Parent Loop BB13_4 Depth=1
                                        ; =>  This Inner Loop Header: Depth=2
	s_delay_alu instid0(VALU_DEP_1) | instskip(SKIP_4) | instid1(SALU_CYCLE_1)
	v_add_nc_u32_e32 v4, 37, v4
	ds_store_b32 v5, v3
	v_add_nc_u32_e32 v5, 0x94, v5
	v_cmp_lt_u32_e32 vcc_lo, 0x102, v4
	s_or_b32 s14, vcc_lo, s14
	s_and_not1_b32 exec_lo, exec_lo, s14
	s_cbranch_execnz .LBB13_6
.LBB13_7:                               ;   in Loop: Header=BB13_4 Depth=1
	s_or_b32 exec_lo, exec_lo, s13
	s_delay_alu instid0(VALU_DEP_1) | instskip(SKIP_1) | instid1(VALU_DEP_2)
	v_lshrrev_b32_e32 v4, s12, v18
	v_bfe_u32 v5, v18, s12, 3
	v_lshrrev_b32_e32 v4, 2, v4
	s_delay_alu instid0(VALU_DEP_2) | instskip(NEXT) | instid1(VALU_DEP_2)
	v_mad_u32_u24 v5, v5, 37, v0
	v_and_b32_e32 v4, 2, v4
	s_delay_alu instid0(VALU_DEP_1)
	v_lshl_or_b32 v21, v5, 2, v4
	v_lshrrev_b32_e32 v4, s12, v17
	v_bfe_u32 v5, v17, s12, 3
	ds_load_u16 v20, v21
	v_lshrrev_b32_e32 v4, 2, v4
	v_mad_u32_u24 v5, v5, 37, v0
	s_delay_alu instid0(VALU_DEP_2) | instskip(NEXT) | instid1(VALU_DEP_1)
	v_and_b32_e32 v4, 2, v4
	v_lshl_or_b32 v22, v5, 2, v4
	s_waitcnt lgkmcnt(0)
	v_add_nc_u16 v6, v20, 1
	ds_store_b16 v21, v6
	ds_load_u16 v23, v22
	s_waitcnt lgkmcnt(0)
	v_add_nc_u16 v4, v23, 1
	ds_store_b16 v22, v4
	s_waitcnt lgkmcnt(0)
	s_barrier
	buffer_gl0_inv
	ds_load_2addr_b32 v[10:11], v14 offset1:1
	ds_load_2addr_b32 v[8:9], v14 offset0:2 offset1:3
	ds_load_2addr_b32 v[4:5], v14 offset0:4 offset1:5
	;; [unrolled: 1-line block ×3, first 2 shown]
	s_waitcnt lgkmcnt(3)
	v_add_nc_u32_e32 v24, v11, v10
	s_waitcnt lgkmcnt(2)
	s_delay_alu instid0(VALU_DEP_1) | instskip(SKIP_1) | instid1(VALU_DEP_1)
	v_add3_u32 v24, v24, v8, v9
	s_waitcnt lgkmcnt(1)
	v_add3_u32 v24, v24, v4, v5
	s_waitcnt lgkmcnt(0)
	s_delay_alu instid0(VALU_DEP_1) | instskip(NEXT) | instid1(VALU_DEP_1)
	v_add3_u32 v7, v24, v6, v7
	v_mov_b32_dpp v24, v7 row_shr:1 row_mask:0xf bank_mask:0xf
	s_delay_alu instid0(VALU_DEP_1) | instskip(NEXT) | instid1(VALU_DEP_1)
	v_cndmask_b32_e64 v24, v24, 0, s2
	v_add_nc_u32_e32 v7, v24, v7
	s_delay_alu instid0(VALU_DEP_1) | instskip(NEXT) | instid1(VALU_DEP_1)
	v_mov_b32_dpp v24, v7 row_shr:2 row_mask:0xf bank_mask:0xf
	v_cndmask_b32_e64 v24, 0, v24, s3
	s_delay_alu instid0(VALU_DEP_1) | instskip(NEXT) | instid1(VALU_DEP_1)
	v_add_nc_u32_e32 v7, v7, v24
	v_mov_b32_dpp v24, v7 row_shr:4 row_mask:0xf bank_mask:0xf
	s_delay_alu instid0(VALU_DEP_1) | instskip(NEXT) | instid1(VALU_DEP_1)
	v_cndmask_b32_e64 v24, 0, v24, s4
	v_add_nc_u32_e32 v7, v7, v24
	s_delay_alu instid0(VALU_DEP_1) | instskip(NEXT) | instid1(VALU_DEP_1)
	v_mov_b32_dpp v24, v7 row_shr:8 row_mask:0xf bank_mask:0xf
	v_cndmask_b32_e64 v24, 0, v24, s5
	s_delay_alu instid0(VALU_DEP_1) | instskip(SKIP_3) | instid1(VALU_DEP_1)
	v_add_nc_u32_e32 v7, v7, v24
	ds_swizzle_b32 v24, v7 offset:swizzle(BROADCAST,32,15)
	s_waitcnt lgkmcnt(0)
	v_cndmask_b32_e64 v24, v24, 0, s6
	v_add_nc_u32_e32 v7, v7, v24
	s_and_saveexec_b32 s13, s7
	s_cbranch_execz .LBB13_9
; %bb.8:                                ;   in Loop: Header=BB13_4 Depth=1
	ds_store_b32 v16, v7 offset:1184
.LBB13_9:                               ;   in Loop: Header=BB13_4 Depth=1
	s_or_b32 exec_lo, exec_lo, s13
	s_waitcnt lgkmcnt(0)
	s_barrier
	buffer_gl0_inv
	s_and_saveexec_b32 s13, s8
	s_cbranch_execz .LBB13_11
; %bb.10:                               ;   in Loop: Header=BB13_4 Depth=1
	ds_load_b32 v24, v12 offset:1184
	s_waitcnt lgkmcnt(0)
	v_mov_b32_dpp v25, v24 row_shr:1 row_mask:0xf bank_mask:0xf
	s_delay_alu instid0(VALU_DEP_1) | instskip(NEXT) | instid1(VALU_DEP_1)
	v_cndmask_b32_e64 v25, v25, 0, s11
	v_add_nc_u32_e32 v24, v25, v24
	ds_store_b32 v12, v24 offset:1184
.LBB13_11:                              ;   in Loop: Header=BB13_4 Depth=1
	s_or_b32 exec_lo, exec_lo, s13
	v_mov_b32_e32 v24, 0
	s_waitcnt lgkmcnt(0)
	s_barrier
	buffer_gl0_inv
	s_and_saveexec_b32 s13, s9
	s_cbranch_execz .LBB13_13
; %bb.12:                               ;   in Loop: Header=BB13_4 Depth=1
	ds_load_b32 v24, v16 offset:1180
.LBB13_13:                              ;   in Loop: Header=BB13_4 Depth=1
	s_or_b32 exec_lo, exec_lo, s13
	s_waitcnt lgkmcnt(0)
	v_add_nc_u32_e32 v7, v24, v7
	ds_load_b32 v25, v3 offset:1188
	s_cmp_gt_u32 s12, 27
	ds_bpermute_b32 v7, v15, v7
	s_waitcnt lgkmcnt(0)
	v_cndmask_b32_e64 v7, v7, v24, s10
	s_delay_alu instid0(VALU_DEP_1) | instskip(NEXT) | instid1(VALU_DEP_1)
	v_lshl_add_u32 v7, v25, 16, v7
	v_add_nc_u32_e32 v10, v7, v10
	s_delay_alu instid0(VALU_DEP_1) | instskip(NEXT) | instid1(VALU_DEP_1)
	v_add_nc_u32_e32 v11, v10, v11
	v_add_nc_u32_e32 v8, v11, v8
	s_delay_alu instid0(VALU_DEP_1) | instskip(NEXT) | instid1(VALU_DEP_1)
	v_add_nc_u32_e32 v9, v8, v9
	;; [unrolled: 3-line block ×3, first 2 shown]
	v_add_nc_u32_e32 v6, v5, v6
	ds_store_2addr_b32 v14, v7, v10 offset1:1
	ds_store_2addr_b32 v14, v11, v8 offset0:2 offset1:3
	ds_store_2addr_b32 v14, v9, v4 offset0:4 offset1:5
	;; [unrolled: 1-line block ×3, first 2 shown]
	s_waitcnt lgkmcnt(0)
	s_barrier
	buffer_gl0_inv
	ds_load_u16 v4, v21
	ds_load_u16 v5, v22
	v_and_b32_e32 v6, 0xffff, v20
	v_and_b32_e32 v8, 0xffff, v23
	s_waitcnt lgkmcnt(1)
	s_delay_alu instid0(VALU_DEP_2) | instskip(SKIP_1) | instid1(VALU_DEP_2)
	v_add_nc_u32_e32 v7, v4, v6
	s_waitcnt lgkmcnt(0)
	v_add_nc_u32_e32 v6, v5, v8
	s_cbranch_scc0 .LBB13_3
; %bb.14:
                                        ; implicit-def: $vgpr5
                                        ; implicit-def: $sgpr12
.LBB13_15:
	s_delay_alu instid0(VALU_DEP_2) | instskip(NEXT) | instid1(VALU_DEP_2)
	v_lshlrev_b32_e32 v3, 2, v7
	v_lshlrev_b32_e32 v4, 2, v6
	s_barrier
	buffer_gl0_inv
	ds_store_b32 v3, v18
	ds_store_b32 v4, v17
	s_waitcnt lgkmcnt(0)
	s_barrier
	buffer_gl0_inv
	ds_load_2addr_b32 v[2:3], v2 offset1:1
	s_waitcnt lgkmcnt(0)
	s_barrier
	buffer_gl0_inv
	s_and_saveexec_b32 s1, s0
	s_cbranch_execz .LBB13_17
; %bb.16:
	v_mov_b32_e32 v4, 0x4a
	ds_store_2addr_b32 v12, v4, v4 offset0:74 offset1:111
.LBB13_17:
	s_or_b32 exec_lo, exec_lo, s1
	v_lshlrev_b32_e32 v4, 2, v2
	s_mov_b32 s1, exec_lo
	s_waitcnt lgkmcnt(0)
	s_barrier
	buffer_gl0_inv
	ds_store_b32 v12, v3
	v_cmpx_ne_u32_e64 v2, v3
	s_cbranch_execz .LBB13_19
; %bb.18:
	v_or_b32_e32 v5, 1, v13
	v_lshlrev_b32_e32 v3, 2, v3
	ds_store_b32 v3, v5 offset:296
	ds_store_b32 v4, v5 offset:444
.LBB13_19:
	s_or_b32 exec_lo, exec_lo, s1
	v_cmp_eq_u32_e32 vcc_lo, 0, v0
	s_mov_b32 s2, exec_lo
	s_waitcnt lgkmcnt(0)
	s_barrier
	buffer_gl0_inv
	v_cmpx_ne_u32_e32 0, v0
	s_cbranch_execz .LBB13_22
; %bb.20:
	v_add_nc_u32_e32 v0, -4, v12
	ds_load_b32 v3, v0
	s_waitcnt lgkmcnt(0)
	v_cmp_ne_u32_e64 s1, v3, v2
	s_delay_alu instid0(VALU_DEP_1)
	s_and_b32 exec_lo, exec_lo, s1
	s_cbranch_execz .LBB13_22
; %bb.21:
	ds_store_b32 v4, v13 offset:296
	ds_load_b32 v0, v0
	s_waitcnt lgkmcnt(0)
	v_lshlrev_b32_e32 v0, 2, v0
	ds_store_b32 v0, v13 offset:444
.LBB13_22:
	s_or_b32 exec_lo, exec_lo, s2
	s_waitcnt lgkmcnt(0)
	s_barrier
	buffer_gl0_inv
	s_and_saveexec_b32 s1, vcc_lo
	s_cbranch_execz .LBB13_24
; %bb.23:
	v_mov_b32_e32 v0, 0
	ds_store_b32 v4, v0 offset:296
.LBB13_24:
	s_or_b32 exec_lo, exec_lo, s1
	s_waitcnt lgkmcnt(0)
	s_barrier
	buffer_gl0_inv
	s_and_saveexec_b32 s1, s0
	s_cbranch_execz .LBB13_26
; %bb.25:
	ds_load_2addr_b32 v[2:3], v12 offset0:74 offset1:111
	ds_load_b32 v0, v12 offset:1200
	s_waitcnt lgkmcnt(1)
	v_sub_nc_u32_e32 v2, v3, v2
	s_waitcnt lgkmcnt(0)
	s_delay_alu instid0(VALU_DEP_1)
	v_add_nc_u32_e32 v0, v2, v0
	ds_store_b32 v12, v0 offset:1200
.LBB13_26:
	s_or_b32 exec_lo, exec_lo, s1
	s_waitcnt lgkmcnt(0)
	s_barrier
	buffer_gl0_inv
	s_and_saveexec_b32 s1, s0
	s_cbranch_execz .LBB13_28
; %bb.27:
	ds_load_b32 v3, v12 offset:1200
	v_mov_b32_e32 v2, 0
	s_delay_alu instid0(VALU_DEP_1) | instskip(NEXT) | instid1(VALU_DEP_1)
	v_lshlrev_b64 v[0:1], 2, v[1:2]
	v_add_co_u32 v0, vcc_lo, s18, v0
	s_delay_alu instid0(VALU_DEP_2)
	v_add_co_ci_u32_e32 v1, vcc_lo, s19, v1, vcc_lo
	s_waitcnt lgkmcnt(0)
	global_store_b32 v[0:1], v3, off
.LBB13_28:
	s_nop 0
	s_sendmsg sendmsg(MSG_DEALLOC_VGPRS)
	s_endpgm
	.section	.rodata,"a",@progbits
	.p2align	6, 0x0
	.amdhsa_kernel _Z16histogram_kernelILj37ELj2ELj37ELN6hipcub23BlockHistogramAlgorithmE1EjEvPT3_S3_
		.amdhsa_group_segment_fixed_size 1348
		.amdhsa_private_segment_fixed_size 0
		.amdhsa_kernarg_size 16
		.amdhsa_user_sgpr_count 15
		.amdhsa_user_sgpr_dispatch_ptr 0
		.amdhsa_user_sgpr_queue_ptr 0
		.amdhsa_user_sgpr_kernarg_segment_ptr 1
		.amdhsa_user_sgpr_dispatch_id 0
		.amdhsa_user_sgpr_private_segment_size 0
		.amdhsa_wavefront_size32 1
		.amdhsa_uses_dynamic_stack 0
		.amdhsa_enable_private_segment 0
		.amdhsa_system_sgpr_workgroup_id_x 1
		.amdhsa_system_sgpr_workgroup_id_y 0
		.amdhsa_system_sgpr_workgroup_id_z 0
		.amdhsa_system_sgpr_workgroup_info 0
		.amdhsa_system_vgpr_workitem_id 0
		.amdhsa_next_free_vgpr 26
		.amdhsa_next_free_sgpr 20
		.amdhsa_reserve_vcc 1
		.amdhsa_float_round_mode_32 0
		.amdhsa_float_round_mode_16_64 0
		.amdhsa_float_denorm_mode_32 3
		.amdhsa_float_denorm_mode_16_64 3
		.amdhsa_dx10_clamp 1
		.amdhsa_ieee_mode 1
		.amdhsa_fp16_overflow 0
		.amdhsa_workgroup_processor_mode 1
		.amdhsa_memory_ordered 1
		.amdhsa_forward_progress 0
		.amdhsa_shared_vgpr_count 0
		.amdhsa_exception_fp_ieee_invalid_op 0
		.amdhsa_exception_fp_denorm_src 0
		.amdhsa_exception_fp_ieee_div_zero 0
		.amdhsa_exception_fp_ieee_overflow 0
		.amdhsa_exception_fp_ieee_underflow 0
		.amdhsa_exception_fp_ieee_inexact 0
		.amdhsa_exception_int_div_zero 0
	.end_amdhsa_kernel
	.section	.text._Z16histogram_kernelILj37ELj2ELj37ELN6hipcub23BlockHistogramAlgorithmE1EjEvPT3_S3_,"axG",@progbits,_Z16histogram_kernelILj37ELj2ELj37ELN6hipcub23BlockHistogramAlgorithmE1EjEvPT3_S3_,comdat
.Lfunc_end13:
	.size	_Z16histogram_kernelILj37ELj2ELj37ELN6hipcub23BlockHistogramAlgorithmE1EjEvPT3_S3_, .Lfunc_end13-_Z16histogram_kernelILj37ELj2ELj37ELN6hipcub23BlockHistogramAlgorithmE1EjEvPT3_S3_
                                        ; -- End function
	.section	.AMDGPU.csdata,"",@progbits
; Kernel info:
; codeLenInByte = 1632
; NumSgprs: 22
; NumVgprs: 26
; ScratchSize: 0
; MemoryBound: 0
; FloatMode: 240
; IeeeMode: 1
; LDSByteSize: 1348 bytes/workgroup (compile time only)
; SGPRBlocks: 2
; VGPRBlocks: 3
; NumSGPRsForWavesPerEU: 22
; NumVGPRsForWavesPerEU: 26
; Occupancy: 16
; WaveLimiterHint : 0
; COMPUTE_PGM_RSRC2:SCRATCH_EN: 0
; COMPUTE_PGM_RSRC2:USER_SGPR: 15
; COMPUTE_PGM_RSRC2:TRAP_HANDLER: 0
; COMPUTE_PGM_RSRC2:TGID_X_EN: 1
; COMPUTE_PGM_RSRC2:TGID_Y_EN: 0
; COMPUTE_PGM_RSRC2:TGID_Z_EN: 0
; COMPUTE_PGM_RSRC2:TIDIG_COMP_CNT: 0
	.section	.text._Z16histogram_kernelILj1024ELj1ELj1024ELN6hipcub23BlockHistogramAlgorithmE1EjEvPT3_S3_,"axG",@progbits,_Z16histogram_kernelILj1024ELj1ELj1024ELN6hipcub23BlockHistogramAlgorithmE1EjEvPT3_S3_,comdat
	.protected	_Z16histogram_kernelILj1024ELj1ELj1024ELN6hipcub23BlockHistogramAlgorithmE1EjEvPT3_S3_ ; -- Begin function _Z16histogram_kernelILj1024ELj1ELj1024ELN6hipcub23BlockHistogramAlgorithmE1EjEvPT3_S3_
	.globl	_Z16histogram_kernelILj1024ELj1ELj1024ELN6hipcub23BlockHistogramAlgorithmE1EjEvPT3_S3_
	.p2align	8
	.type	_Z16histogram_kernelILj1024ELj1ELj1024ELN6hipcub23BlockHistogramAlgorithmE1EjEvPT3_S3_,@function
_Z16histogram_kernelILj1024ELj1ELj1024ELN6hipcub23BlockHistogramAlgorithmE1EjEvPT3_S3_: ; @_Z16histogram_kernelILj1024ELj1ELj1024ELN6hipcub23BlockHistogramAlgorithmE1EjEvPT3_S3_
; %bb.0:
	s_load_b128 s[16:19], s[0:1], 0x0
	v_and_b32_e32 v3, 0x3ff, v0
	v_mov_b32_e32 v5, 0
	s_load_b32 s0, s[0:1], 0x1c
	v_mbcnt_lo_u32_b32 v9, -1, 0
	s_mov_b32 s12, 0
	v_lshl_or_b32 v4, s15, 10, v3
	v_cmp_gt_u32_e64 s8, 32, v3
	v_cmp_lt_u32_e64 s9, 31, v3
	v_add_nc_u32_e32 v10, -1, v9
	v_cmp_eq_u32_e64 s10, 0, v9
	v_lshlrev_b64 v[1:2], 2, v[4:5]
	v_bfe_u32 v4, v0, 10, 10
	v_bfe_u32 v0, v0, 20, 10
	v_cmp_ne_u32_e64 s3, 0, v3
	s_waitcnt lgkmcnt(0)
	s_delay_alu instid0(VALU_DEP_4)
	v_add_co_u32 v6, vcc_lo, s16, v1
	v_add_co_ci_u32_e32 v7, vcc_lo, s17, v2, vcc_lo
	s_lshr_b32 s1, s0, 16
	s_and_b32 s0, s0, 0xffff
	v_mad_u32_u24 v4, v0, s1, v4
	v_lshlrev_b32_e32 v0, 2, v3
	global_load_b32 v6, v[6:7], off
	v_cmp_gt_i32_e32 vcc_lo, 0, v10
	v_lshlrev_b32_e32 v14, 5, v3
	v_mad_u64_u32 v[7:8], null, v4, s0, v[3:4]
	v_and_b32_e32 v8, 15, v9
	v_add_nc_u32_e32 v4, 0x8080, v0
	v_cmp_eq_u32_e64 s0, 0, v3
	ds_store_b32 v0, v5 offset:32896
	s_waitcnt vmcnt(0) lgkmcnt(0)
	v_cmp_eq_u32_e64 s1, 0, v8
	v_lshrrev_b32_e32 v16, 5, v7
	v_and_b32_e32 v7, 16, v9
	v_cmp_lt_u32_e64 s2, 1, v8
	v_cmp_lt_u32_e64 s4, 3, v8
	;; [unrolled: 1-line block ×3, first 2 shown]
	v_and_b32_e32 v8, 31, v3
	v_cmp_eq_u32_e64 s6, 0, v7
	v_cndmask_b32_e32 v7, v10, v9, vcc_lo
	v_lshrrev_b32_e32 v10, 3, v3
	v_add_nc_u32_e32 v15, 0x80, v14
	v_cmp_eq_u32_e64 s7, 31, v8
	s_barrier
	v_lshlrev_b32_e32 v17, 2, v7
	v_and_b32_e32 v18, 0x7c, v10
	v_and_or_b32 v7, 0x3e0, v3, v9
	buffer_gl0_inv
	v_add_nc_u32_e32 v19, -4, v18
	v_lshlrev_b32_e32 v21, 2, v7
	s_branch .LBB14_2
.LBB14_1:                               ;   in Loop: Header=BB14_2 Depth=1
	s_delay_alu instid0(VALU_DEP_1)
	v_lshlrev_b32_e32 v6, 2, v7
	s_barrier
	buffer_gl0_inv
	s_add_i32 s12, s12, 8
	ds_store_b32 v6, v20
	s_waitcnt lgkmcnt(0)
	s_barrier
	buffer_gl0_inv
	ds_load_b32 v6, v21
	s_waitcnt lgkmcnt(0)
	s_barrier
	buffer_gl0_inv
	s_cbranch_execz .LBB14_12
.LBB14_2:                               ; =>This Inner Loop Header: Depth=1
	v_mov_b32_e32 v20, v6
	ds_store_2addr_b32 v14, v5, v5 offset0:32 offset1:33
	ds_store_2addr_b32 v15, v5, v5 offset0:2 offset1:3
	;; [unrolled: 1-line block ×4, first 2 shown]
	s_waitcnt lgkmcnt(0)
	s_barrier
	buffer_gl0_inv
	v_lshrrev_b32_e32 v7, s12, v20
	; wave barrier
	s_delay_alu instid0(VALU_DEP_1)
	v_lshlrev_b32_e32 v9, 30, v7
	v_bfe_u32 v6, v20, s12, 1
	v_lshlrev_b32_e32 v10, 29, v7
	v_lshlrev_b32_e32 v11, 28, v7
	;; [unrolled: 1-line block ×4, first 2 shown]
	v_add_co_u32 v6, s11, v6, -1
	s_delay_alu instid0(VALU_DEP_1) | instskip(SKIP_3) | instid1(VALU_DEP_4)
	v_cndmask_b32_e64 v8, 0, 1, s11
	v_cmp_gt_i32_e64 s11, 0, v9
	v_lshlrev_b32_e32 v22, 25, v7
	v_lshlrev_b32_e32 v7, 24, v7
	v_cmp_ne_u32_e32 vcc_lo, 0, v8
	v_not_b32_e32 v8, v9
	v_not_b32_e32 v9, v10
	v_xor_b32_e32 v6, vcc_lo, v6
	s_delay_alu instid0(VALU_DEP_3)
	v_ashrrev_i32_e32 v8, 31, v8
	v_cmp_gt_i32_e32 vcc_lo, 0, v10
	v_not_b32_e32 v10, v11
	v_ashrrev_i32_e32 v9, 31, v9
	v_and_b32_e32 v6, exec_lo, v6
	v_xor_b32_e32 v8, s11, v8
	v_cmp_gt_i32_e64 s11, 0, v11
	v_not_b32_e32 v11, v12
	v_ashrrev_i32_e32 v10, 31, v10
	v_xor_b32_e32 v9, vcc_lo, v9
	v_and_b32_e32 v6, v6, v8
	v_cmp_gt_i32_e32 vcc_lo, 0, v12
	v_not_b32_e32 v8, v13
	v_ashrrev_i32_e32 v11, 31, v11
	v_xor_b32_e32 v10, s11, v10
	v_and_b32_e32 v6, v6, v9
	v_cmp_gt_i32_e64 s11, 0, v13
	v_not_b32_e32 v9, v22
	v_ashrrev_i32_e32 v8, 31, v8
	v_xor_b32_e32 v11, vcc_lo, v11
	v_and_b32_e32 v6, v6, v10
	v_cmp_gt_i32_e32 vcc_lo, 0, v22
	v_not_b32_e32 v10, v7
	v_ashrrev_i32_e32 v9, 31, v9
	v_xor_b32_e32 v8, s11, v8
	v_and_b32_e32 v6, v6, v11
	v_cmp_gt_i32_e64 s11, 0, v7
	v_ashrrev_i32_e32 v7, 31, v10
	v_xor_b32_e32 v9, vcc_lo, v9
	s_delay_alu instid0(VALU_DEP_4) | instskip(NEXT) | instid1(VALU_DEP_3)
	v_and_b32_e32 v6, v6, v8
	v_xor_b32_e32 v7, s11, v7
	s_delay_alu instid0(VALU_DEP_2) | instskip(NEXT) | instid1(VALU_DEP_1)
	v_and_b32_e32 v6, v6, v9
	v_and_b32_e32 v6, v6, v7
	v_bfe_u32 v7, v20, s12, 8
	s_delay_alu instid0(VALU_DEP_2) | instskip(NEXT) | instid1(VALU_DEP_2)
	v_mbcnt_lo_u32_b32 v22, v6, 0
	v_lshl_add_u32 v7, v7, 5, v16
	v_cmp_ne_u32_e64 s11, 0, v6
	s_delay_alu instid0(VALU_DEP_3) | instskip(NEXT) | instid1(VALU_DEP_3)
	v_cmp_eq_u32_e32 vcc_lo, 0, v22
	v_lshl_add_u32 v23, v7, 2, 0x80
	s_delay_alu instid0(VALU_DEP_3) | instskip(NEXT) | instid1(SALU_CYCLE_1)
	s_and_b32 s13, s11, vcc_lo
	s_and_saveexec_b32 s11, s13
	s_cbranch_execz .LBB14_4
; %bb.3:                                ;   in Loop: Header=BB14_2 Depth=1
	v_bcnt_u32_b32 v6, v6, 0
	ds_store_b32 v23, v6
.LBB14_4:                               ;   in Loop: Header=BB14_2 Depth=1
	s_or_b32 exec_lo, exec_lo, s11
	; wave barrier
	s_waitcnt lgkmcnt(0)
	s_barrier
	buffer_gl0_inv
	ds_load_2addr_b32 v[12:13], v14 offset0:32 offset1:33
	ds_load_2addr_b32 v[10:11], v15 offset0:2 offset1:3
	;; [unrolled: 1-line block ×4, first 2 shown]
	s_waitcnt lgkmcnt(3)
	v_add_nc_u32_e32 v24, v13, v12
	s_waitcnt lgkmcnt(2)
	s_delay_alu instid0(VALU_DEP_1) | instskip(SKIP_1) | instid1(VALU_DEP_1)
	v_add3_u32 v24, v24, v10, v11
	s_waitcnt lgkmcnt(1)
	v_add3_u32 v24, v24, v6, v7
	s_waitcnt lgkmcnt(0)
	s_delay_alu instid0(VALU_DEP_1) | instskip(NEXT) | instid1(VALU_DEP_1)
	v_add3_u32 v9, v24, v8, v9
	v_mov_b32_dpp v24, v9 row_shr:1 row_mask:0xf bank_mask:0xf
	s_delay_alu instid0(VALU_DEP_1) | instskip(NEXT) | instid1(VALU_DEP_1)
	v_cndmask_b32_e64 v24, v24, 0, s1
	v_add_nc_u32_e32 v9, v24, v9
	s_delay_alu instid0(VALU_DEP_1) | instskip(NEXT) | instid1(VALU_DEP_1)
	v_mov_b32_dpp v24, v9 row_shr:2 row_mask:0xf bank_mask:0xf
	v_cndmask_b32_e64 v24, 0, v24, s2
	s_delay_alu instid0(VALU_DEP_1) | instskip(NEXT) | instid1(VALU_DEP_1)
	v_add_nc_u32_e32 v9, v9, v24
	v_mov_b32_dpp v24, v9 row_shr:4 row_mask:0xf bank_mask:0xf
	s_delay_alu instid0(VALU_DEP_1) | instskip(NEXT) | instid1(VALU_DEP_1)
	v_cndmask_b32_e64 v24, 0, v24, s4
	v_add_nc_u32_e32 v9, v9, v24
	s_delay_alu instid0(VALU_DEP_1) | instskip(NEXT) | instid1(VALU_DEP_1)
	v_mov_b32_dpp v24, v9 row_shr:8 row_mask:0xf bank_mask:0xf
	v_cndmask_b32_e64 v24, 0, v24, s5
	s_delay_alu instid0(VALU_DEP_1) | instskip(SKIP_3) | instid1(VALU_DEP_1)
	v_add_nc_u32_e32 v9, v9, v24
	ds_swizzle_b32 v24, v9 offset:swizzle(BROADCAST,32,15)
	s_waitcnt lgkmcnt(0)
	v_cndmask_b32_e64 v24, v24, 0, s6
	v_add_nc_u32_e32 v9, v9, v24
	s_and_saveexec_b32 s11, s7
	s_cbranch_execz .LBB14_6
; %bb.5:                                ;   in Loop: Header=BB14_2 Depth=1
	ds_store_b32 v18, v9
.LBB14_6:                               ;   in Loop: Header=BB14_2 Depth=1
	s_or_b32 exec_lo, exec_lo, s11
	s_waitcnt lgkmcnt(0)
	s_barrier
	buffer_gl0_inv
	s_and_saveexec_b32 s11, s8
	s_cbranch_execz .LBB14_8
; %bb.7:                                ;   in Loop: Header=BB14_2 Depth=1
	ds_load_b32 v24, v0
	s_waitcnt lgkmcnt(0)
	v_mov_b32_dpp v25, v24 row_shr:1 row_mask:0xf bank_mask:0xf
	s_delay_alu instid0(VALU_DEP_1) | instskip(NEXT) | instid1(VALU_DEP_1)
	v_cndmask_b32_e64 v25, v25, 0, s1
	v_add_nc_u32_e32 v24, v25, v24
	s_delay_alu instid0(VALU_DEP_1) | instskip(NEXT) | instid1(VALU_DEP_1)
	v_mov_b32_dpp v25, v24 row_shr:2 row_mask:0xf bank_mask:0xf
	v_cndmask_b32_e64 v25, 0, v25, s2
	s_delay_alu instid0(VALU_DEP_1) | instskip(NEXT) | instid1(VALU_DEP_1)
	v_add_nc_u32_e32 v24, v24, v25
	v_mov_b32_dpp v25, v24 row_shr:4 row_mask:0xf bank_mask:0xf
	s_delay_alu instid0(VALU_DEP_1) | instskip(NEXT) | instid1(VALU_DEP_1)
	v_cndmask_b32_e64 v25, 0, v25, s4
	v_add_nc_u32_e32 v24, v24, v25
	s_delay_alu instid0(VALU_DEP_1) | instskip(NEXT) | instid1(VALU_DEP_1)
	v_mov_b32_dpp v25, v24 row_shr:8 row_mask:0xf bank_mask:0xf
	v_cndmask_b32_e64 v25, 0, v25, s5
	s_delay_alu instid0(VALU_DEP_1) | instskip(SKIP_3) | instid1(VALU_DEP_1)
	v_add_nc_u32_e32 v24, v24, v25
	ds_swizzle_b32 v25, v24 offset:swizzle(BROADCAST,32,15)
	s_waitcnt lgkmcnt(0)
	v_cndmask_b32_e64 v25, v25, 0, s6
	v_add_nc_u32_e32 v24, v24, v25
	ds_store_b32 v0, v24
.LBB14_8:                               ;   in Loop: Header=BB14_2 Depth=1
	s_or_b32 exec_lo, exec_lo, s11
	v_mov_b32_e32 v24, 0
	s_waitcnt lgkmcnt(0)
	s_barrier
	buffer_gl0_inv
	s_and_saveexec_b32 s11, s9
	s_cbranch_execz .LBB14_10
; %bb.9:                                ;   in Loop: Header=BB14_2 Depth=1
	ds_load_b32 v24, v19
.LBB14_10:                              ;   in Loop: Header=BB14_2 Depth=1
	s_or_b32 exec_lo, exec_lo, s11
	s_waitcnt lgkmcnt(0)
	v_add_nc_u32_e32 v9, v24, v9
	s_cmp_gt_u32 s12, 23
	ds_bpermute_b32 v9, v17, v9
	s_waitcnt lgkmcnt(0)
	v_cndmask_b32_e64 v9, v9, v24, s10
	s_delay_alu instid0(VALU_DEP_1) | instskip(NEXT) | instid1(VALU_DEP_1)
	v_cndmask_b32_e64 v9, v9, 0, s0
	v_add_nc_u32_e32 v12, v9, v12
	s_delay_alu instid0(VALU_DEP_1) | instskip(NEXT) | instid1(VALU_DEP_1)
	v_add_nc_u32_e32 v13, v12, v13
	v_add_nc_u32_e32 v10, v13, v10
	s_delay_alu instid0(VALU_DEP_1) | instskip(NEXT) | instid1(VALU_DEP_1)
	v_add_nc_u32_e32 v11, v10, v11
	;; [unrolled: 3-line block ×3, first 2 shown]
	v_add_nc_u32_e32 v8, v7, v8
	ds_store_2addr_b32 v14, v9, v12 offset0:32 offset1:33
	ds_store_2addr_b32 v15, v13, v10 offset0:2 offset1:3
	;; [unrolled: 1-line block ×4, first 2 shown]
	s_waitcnt lgkmcnt(0)
	s_barrier
	buffer_gl0_inv
	ds_load_b32 v6, v23
	s_waitcnt lgkmcnt(0)
	v_add_nc_u32_e32 v7, v6, v22
	s_cbranch_scc0 .LBB14_1
; %bb.11:
                                        ; implicit-def: $sgpr12
                                        ; implicit-def: $vgpr6
.LBB14_12:
	s_delay_alu instid0(VALU_DEP_1)
	v_dual_mov_b32 v6, 0x400 :: v_dual_lshlrev_b32 v5, 2, v7
	s_barrier
	buffer_gl0_inv
	ds_store_b32 v5, v20
	s_waitcnt lgkmcnt(0)
	s_barrier
	buffer_gl0_inv
	ds_load_b32 v5, v0
	s_waitcnt lgkmcnt(0)
	s_barrier
	buffer_gl0_inv
	ds_store_2addr_stride64_b32 v0, v6, v6 offset0:32 offset1:48
	s_waitcnt lgkmcnt(0)
	s_barrier
	buffer_gl0_inv
	ds_store_b32 v0, v5
	s_waitcnt lgkmcnt(0)
	s_barrier
	buffer_gl0_inv
	s_and_saveexec_b32 s1, s3
	s_cbranch_execz .LBB14_15
; %bb.13:
	v_add_nc_u32_e32 v6, -4, v0
	ds_load_b32 v7, v6
	s_waitcnt lgkmcnt(0)
	v_cmp_ne_u32_e32 vcc_lo, v7, v5
	s_and_b32 exec_lo, exec_lo, vcc_lo
	s_cbranch_execz .LBB14_15
; %bb.14:
	v_lshlrev_b32_e32 v7, 2, v5
	ds_store_b32 v7, v3 offset:8192
	ds_load_b32 v6, v6
	s_waitcnt lgkmcnt(0)
	v_lshlrev_b32_e32 v6, 2, v6
	ds_store_b32 v6, v3 offset:12288
.LBB14_15:
	s_or_b32 exec_lo, exec_lo, s1
	s_waitcnt lgkmcnt(0)
	s_barrier
	buffer_gl0_inv
	s_and_saveexec_b32 s1, s0
	s_cbranch_execz .LBB14_17
; %bb.16:
	v_lshlrev_b32_e32 v3, 2, v5
	v_mov_b32_e32 v5, 0
	ds_store_b32 v3, v5 offset:8192
.LBB14_17:
	s_or_b32 exec_lo, exec_lo, s1
	s_waitcnt lgkmcnt(0)
	s_barrier
	buffer_gl0_inv
	ds_load_2addr_stride64_b32 v[5:6], v0 offset0:32 offset1:48
	ds_load_b32 v0, v4
	s_waitcnt lgkmcnt(1)
	v_sub_nc_u32_e32 v3, v6, v5
	s_waitcnt lgkmcnt(0)
	s_delay_alu instid0(VALU_DEP_1)
	v_add_nc_u32_e32 v0, v3, v0
	ds_store_b32 v4, v0
	s_waitcnt lgkmcnt(0)
	s_barrier
	buffer_gl0_inv
	ds_load_b32 v3, v4
	v_add_co_u32 v0, vcc_lo, s18, v1
	v_add_co_ci_u32_e32 v1, vcc_lo, s19, v2, vcc_lo
	s_waitcnt lgkmcnt(0)
	global_store_b32 v[0:1], v3, off
	s_nop 0
	s_sendmsg sendmsg(MSG_DEALLOC_VGPRS)
	s_endpgm
	.section	.rodata,"a",@progbits
	.p2align	6, 0x0
	.amdhsa_kernel _Z16histogram_kernelILj1024ELj1ELj1024ELN6hipcub23BlockHistogramAlgorithmE1EjEvPT3_S3_
		.amdhsa_group_segment_fixed_size 36992
		.amdhsa_private_segment_fixed_size 0
		.amdhsa_kernarg_size 272
		.amdhsa_user_sgpr_count 15
		.amdhsa_user_sgpr_dispatch_ptr 0
		.amdhsa_user_sgpr_queue_ptr 0
		.amdhsa_user_sgpr_kernarg_segment_ptr 1
		.amdhsa_user_sgpr_dispatch_id 0
		.amdhsa_user_sgpr_private_segment_size 0
		.amdhsa_wavefront_size32 1
		.amdhsa_uses_dynamic_stack 0
		.amdhsa_enable_private_segment 0
		.amdhsa_system_sgpr_workgroup_id_x 1
		.amdhsa_system_sgpr_workgroup_id_y 0
		.amdhsa_system_sgpr_workgroup_id_z 0
		.amdhsa_system_sgpr_workgroup_info 0
		.amdhsa_system_vgpr_workitem_id 2
		.amdhsa_next_free_vgpr 26
		.amdhsa_next_free_sgpr 20
		.amdhsa_reserve_vcc 1
		.amdhsa_float_round_mode_32 0
		.amdhsa_float_round_mode_16_64 0
		.amdhsa_float_denorm_mode_32 3
		.amdhsa_float_denorm_mode_16_64 3
		.amdhsa_dx10_clamp 1
		.amdhsa_ieee_mode 1
		.amdhsa_fp16_overflow 0
		.amdhsa_workgroup_processor_mode 1
		.amdhsa_memory_ordered 1
		.amdhsa_forward_progress 0
		.amdhsa_shared_vgpr_count 0
		.amdhsa_exception_fp_ieee_invalid_op 0
		.amdhsa_exception_fp_denorm_src 0
		.amdhsa_exception_fp_ieee_div_zero 0
		.amdhsa_exception_fp_ieee_overflow 0
		.amdhsa_exception_fp_ieee_underflow 0
		.amdhsa_exception_fp_ieee_inexact 0
		.amdhsa_exception_int_div_zero 0
	.end_amdhsa_kernel
	.section	.text._Z16histogram_kernelILj1024ELj1ELj1024ELN6hipcub23BlockHistogramAlgorithmE1EjEvPT3_S3_,"axG",@progbits,_Z16histogram_kernelILj1024ELj1ELj1024ELN6hipcub23BlockHistogramAlgorithmE1EjEvPT3_S3_,comdat
.Lfunc_end14:
	.size	_Z16histogram_kernelILj1024ELj1ELj1024ELN6hipcub23BlockHistogramAlgorithmE1EjEvPT3_S3_, .Lfunc_end14-_Z16histogram_kernelILj1024ELj1ELj1024ELN6hipcub23BlockHistogramAlgorithmE1EjEvPT3_S3_
                                        ; -- End function
	.section	.AMDGPU.csdata,"",@progbits
; Kernel info:
; codeLenInByte = 1776
; NumSgprs: 22
; NumVgprs: 26
; ScratchSize: 0
; MemoryBound: 0
; FloatMode: 240
; IeeeMode: 1
; LDSByteSize: 36992 bytes/workgroup (compile time only)
; SGPRBlocks: 2
; VGPRBlocks: 3
; NumSGPRsForWavesPerEU: 22
; NumVGPRsForWavesPerEU: 26
; Occupancy: 16
; WaveLimiterHint : 0
; COMPUTE_PGM_RSRC2:SCRATCH_EN: 0
; COMPUTE_PGM_RSRC2:USER_SGPR: 15
; COMPUTE_PGM_RSRC2:TRAP_HANDLER: 0
; COMPUTE_PGM_RSRC2:TGID_X_EN: 1
; COMPUTE_PGM_RSRC2:TGID_Y_EN: 0
; COMPUTE_PGM_RSRC2:TGID_Z_EN: 0
; COMPUTE_PGM_RSRC2:TIDIG_COMP_CNT: 2
	.section	.text._Z16histogram_kernelILj512ELj4ELj512ELN6hipcub23BlockHistogramAlgorithmE1EjEvPT3_S3_,"axG",@progbits,_Z16histogram_kernelILj512ELj4ELj512ELN6hipcub23BlockHistogramAlgorithmE1EjEvPT3_S3_,comdat
	.protected	_Z16histogram_kernelILj512ELj4ELj512ELN6hipcub23BlockHistogramAlgorithmE1EjEvPT3_S3_ ; -- Begin function _Z16histogram_kernelILj512ELj4ELj512ELN6hipcub23BlockHistogramAlgorithmE1EjEvPT3_S3_
	.globl	_Z16histogram_kernelILj512ELj4ELj512ELN6hipcub23BlockHistogramAlgorithmE1EjEvPT3_S3_
	.p2align	8
	.type	_Z16histogram_kernelILj512ELj4ELj512ELN6hipcub23BlockHistogramAlgorithmE1EjEvPT3_S3_,@function
_Z16histogram_kernelILj512ELj4ELj512ELN6hipcub23BlockHistogramAlgorithmE1EjEvPT3_S3_: ; @_Z16histogram_kernelILj512ELj4ELj512ELN6hipcub23BlockHistogramAlgorithmE1EjEvPT3_S3_
; %bb.0:
	v_and_b32_e32 v5, 0x3ff, v0
	s_load_b128 s[16:19], s[0:1], 0x0
	s_delay_alu instid0(VALU_DEP_1) | instskip(SKIP_1) | instid1(VALU_DEP_2)
	v_dual_mov_b32 v7, 0 :: v_dual_lshlrev_b32 v12, 2, v5
	v_cmp_gt_u32_e64 s2, 0x200, v5
	v_lshl_or_b32 v6, s15, 11, v12
	s_delay_alu instid0(VALU_DEP_1) | instskip(SKIP_1) | instid1(VALU_DEP_1)
	v_lshlrev_b64 v[1:2], 2, v[6:7]
	s_waitcnt lgkmcnt(0)
	v_add_co_u32 v1, vcc_lo, s16, v1
	s_delay_alu instid0(VALU_DEP_2)
	v_add_co_ci_u32_e32 v2, vcc_lo, s17, v2, vcc_lo
	global_load_b128 v[1:4], v[1:2], off
	s_and_saveexec_b32 s3, s2
	s_cbranch_execz .LBB15_2
; %bb.1:
	ds_store_b32 v12, v7 offset:16448
.LBB15_2:
	s_or_b32 exec_lo, exec_lo, s3
	v_mbcnt_lo_u32_b32 v10, -1, 0
	s_waitcnt vmcnt(0) lgkmcnt(0)
	s_barrier
	buffer_gl0_inv
	v_and_b32_e32 v19, 3, v10
	s_barrier
	buffer_gl0_inv
	s_load_b32 s1, s[0:1], 0x1c
	v_bfe_u32 v21, v0, 10, 10
	v_cmp_eq_u32_e32 vcc_lo, 1, v19
	v_and_b32_e32 v6, 28, v10
	v_bfe_u32 v0, v0, 20, 10
	v_cmp_gt_u32_e64 s9, 16, v5
	v_cmp_lt_u32_e64 s10, 31, v5
	v_cmp_eq_u32_e64 s11, 0, v10
	ds_bpermute_b32 v8, v6, v1
	ds_bpermute_b32 v9, v6, v2
	ds_bpermute_b32 v11, v6, v1 offset:32
	ds_bpermute_b32 v13, v6, v2 offset:32
	;; [unrolled: 1-line block ×6, first 2 shown]
	ds_bpermute_b32 v16, v6, v3
	ds_bpermute_b32 v17, v6, v3 offset:32
	ds_bpermute_b32 v18, v6, v3 offset:64
	;; [unrolled: 1-line block ×3, first 2 shown]
	ds_bpermute_b32 v20, v6, v4
	ds_bpermute_b32 v22, v6, v4 offset:32
	ds_bpermute_b32 v23, v6, v4 offset:64
	;; [unrolled: 1-line block ×3, first 2 shown]
	s_waitcnt lgkmcnt(0)
	s_lshr_b32 s3, s1, 16
	s_mov_b32 s13, 0
	v_cndmask_b32_e32 v4, v8, v9, vcc_lo
	v_cmp_eq_u32_e64 s0, 2, v19
	v_cndmask_b32_e32 v8, v11, v13, vcc_lo
	v_mad_u32_u24 v11, v0, s3, v21
	v_dual_cndmask_b32 v9, v14, v15 :: v_dual_add_nc_u32 v14, -1, v10
	v_cndmask_b32_e32 v1, v1, v2, vcc_lo
	v_cndmask_b32_e64 v0, v4, v16, s0
	v_cndmask_b32_e64 v2, v8, v17, s0
	s_delay_alu instid0(VALU_DEP_4)
	v_cndmask_b32_e64 v13, v9, v18, s0
	v_cmp_eq_u32_e32 vcc_lo, 3, v19
	v_cndmask_b32_e64 v3, v1, v3, s0
	s_and_b32 s0, s1, 0xffff
	v_lshlrev_b32_e32 v4, 5, v5
	v_mad_u64_u32 v[8:9], null, v11, s0, v[5:6]
	s_delay_alu instid0(VALU_DEP_3) | instskip(SKIP_4) | instid1(VALU_DEP_4)
	v_cndmask_b32_e32 v3, v3, v6, vcc_lo
	v_dual_cndmask_b32 v0, v0, v20 :: v_dual_and_b32 v11, 0x3e0, v5
	v_dual_cndmask_b32 v1, v2, v22 :: v_dual_cndmask_b32 v2, v13, v23
	v_and_b32_e32 v9, 15, v10
	v_lshrrev_b32_e32 v13, 5, v8
	v_min_u32_e32 v8, 0x1e0, v11
	v_and_b32_e32 v11, 16, v10
	v_cmp_gt_i32_e32 vcc_lo, 0, v14
	v_add_nc_u32_e32 v6, 64, v4
	v_cmp_eq_u32_e64 s3, 0, v9
	v_or_b32_e32 v8, 31, v8
	v_cmp_eq_u32_e64 s7, 0, v11
	v_lshrrev_b32_e32 v11, 3, v5
	v_cmp_lt_u32_e64 s4, 1, v9
	v_cmp_lt_u32_e64 s5, 3, v9
	v_cmp_lt_u32_e64 s6, 7, v9
	v_cndmask_b32_e32 v9, v14, v10, vcc_lo
	v_cmp_eq_u32_e64 s8, v8, v5
	v_and_b32_e32 v15, 0x7c, v11
	v_and_or_b32 v8, 0xf80, v12, v10
	v_cmp_eq_u32_e64 s0, 0, v5
	v_lshlrev_b32_e32 v14, 2, v9
	v_cmp_ne_u32_e64 s1, 0, v5
	v_add_nc_u32_e32 v17, -4, v15
	v_lshlrev_b32_e32 v18, 2, v8
	s_branch .LBB15_4
.LBB15_3:                               ;   in Loop: Header=BB15_4 Depth=1
	v_lshlrev_b32_e32 v0, 2, v11
	v_lshlrev_b32_e32 v1, 2, v10
	v_lshlrev_b32_e32 v2, 2, v9
	v_lshlrev_b32_e32 v3, 2, v8
	s_barrier
	buffer_gl0_inv
	ds_store_b32 v0, v16
	ds_store_b32 v1, v21
	;; [unrolled: 1-line block ×4, first 2 shown]
	s_waitcnt lgkmcnt(0)
	s_barrier
	buffer_gl0_inv
	ds_load_2addr_b32 v[0:1], v18 offset1:32
	ds_load_2addr_b32 v[2:3], v18 offset0:64 offset1:96
	s_add_i32 s13, s13, 8
	s_waitcnt lgkmcnt(0)
	s_barrier
	buffer_gl0_inv
	s_cbranch_execz .LBB15_20
.LBB15_4:                               ; =>This Inner Loop Header: Depth=1
	v_mov_b32_e32 v16, v0
	ds_store_2addr_b32 v4, v7, v7 offset0:16 offset1:17
	ds_store_2addr_b32 v6, v7, v7 offset0:2 offset1:3
	;; [unrolled: 1-line block ×4, first 2 shown]
	s_waitcnt lgkmcnt(0)
	s_barrier
	buffer_gl0_inv
	v_lshrrev_b32_e32 v8, s13, v16
	; wave barrier
	s_delay_alu instid0(VALU_DEP_1)
	v_lshlrev_b32_e32 v11, 29, v8
	v_bfe_u32 v0, v16, s13, 1
	v_lshlrev_b32_e32 v10, 30, v8
	v_lshlrev_b32_e32 v19, 28, v8
	;; [unrolled: 1-line block ×4, first 2 shown]
	v_add_co_u32 v0, s12, v0, -1
	s_delay_alu instid0(VALU_DEP_1) | instskip(SKIP_3) | instid1(VALU_DEP_4)
	v_cndmask_b32_e64 v9, 0, 1, s12
	v_cmp_gt_i32_e64 s12, 0, v10
	v_lshlrev_b32_e32 v22, 25, v8
	v_lshlrev_b32_e32 v8, 24, v8
	v_cmp_ne_u32_e32 vcc_lo, 0, v9
	v_not_b32_e32 v9, v10
	v_not_b32_e32 v10, v11
	v_xor_b32_e32 v0, vcc_lo, v0
	s_delay_alu instid0(VALU_DEP_3)
	v_ashrrev_i32_e32 v9, 31, v9
	v_cmp_gt_i32_e32 vcc_lo, 0, v11
	v_not_b32_e32 v11, v19
	v_ashrrev_i32_e32 v10, 31, v10
	v_and_b32_e32 v0, exec_lo, v0
	v_xor_b32_e32 v9, s12, v9
	v_cmp_gt_i32_e64 s12, 0, v19
	v_ashrrev_i32_e32 v11, 31, v11
	v_xor_b32_e32 v10, vcc_lo, v10
	s_delay_alu instid0(VALU_DEP_4) | instskip(SKIP_1) | instid1(VALU_DEP_4)
	v_and_b32_e32 v0, v0, v9
	v_not_b32_e32 v9, v21
	v_xor_b32_e32 v11, s12, v11
	v_cmp_gt_i32_e64 s12, 0, v21
	v_mov_b32_e32 v21, v1
	v_not_b32_e32 v19, v20
	v_cmp_gt_i32_e32 vcc_lo, 0, v20
	v_and_b32_e32 v0, v0, v10
	v_not_b32_e32 v10, v22
	v_ashrrev_i32_e32 v9, 31, v9
	v_ashrrev_i32_e32 v19, 31, v19
	v_bfe_u32 v1, v16, s13, 8
	v_and_b32_e32 v0, v0, v11
	v_not_b32_e32 v11, v8
	v_ashrrev_i32_e32 v10, 31, v10
	v_xor_b32_e32 v19, vcc_lo, v19
	v_cmp_gt_i32_e32 vcc_lo, 0, v22
	v_xor_b32_e32 v9, s12, v9
	v_cmp_gt_i32_e64 s12, 0, v8
	v_ashrrev_i32_e32 v8, 31, v11
	v_and_b32_e32 v0, v0, v19
	v_xor_b32_e32 v10, vcc_lo, v10
	v_lshl_add_u32 v1, v1, 4, v13
	v_mov_b32_e32 v19, v3
	v_xor_b32_e32 v8, s12, v8
	v_and_b32_e32 v0, v0, v9
	v_mov_b32_e32 v20, v2
	v_lshl_add_u32 v23, v1, 2, 64
	s_delay_alu instid0(VALU_DEP_3) | instskip(NEXT) | instid1(VALU_DEP_1)
	v_and_b32_e32 v0, v0, v10
	v_and_b32_e32 v0, v0, v8
	s_delay_alu instid0(VALU_DEP_1) | instskip(SKIP_1) | instid1(VALU_DEP_2)
	v_mbcnt_lo_u32_b32 v22, v0, 0
	v_cmp_ne_u32_e64 s12, 0, v0
	v_cmp_eq_u32_e32 vcc_lo, 0, v22
	s_delay_alu instid0(VALU_DEP_2) | instskip(NEXT) | instid1(SALU_CYCLE_1)
	s_and_b32 s14, s12, vcc_lo
	s_and_saveexec_b32 s12, s14
	s_cbranch_execz .LBB15_6
; %bb.5:                                ;   in Loop: Header=BB15_4 Depth=1
	v_bcnt_u32_b32 v0, v0, 0
	ds_store_b32 v23, v0
.LBB15_6:                               ;   in Loop: Header=BB15_4 Depth=1
	s_or_b32 exec_lo, exec_lo, s12
	v_bfe_u32 v0, v21, s13, 1
	v_lshrrev_b32_e32 v1, s13, v21
	; wave barrier
	s_delay_alu instid0(VALU_DEP_2) | instskip(NEXT) | instid1(VALU_DEP_1)
	v_add_co_u32 v0, s12, v0, -1
	v_cndmask_b32_e64 v2, 0, 1, s12
	s_delay_alu instid0(VALU_DEP_3)
	v_lshlrev_b32_e32 v3, 30, v1
	v_lshlrev_b32_e32 v8, 29, v1
	v_lshlrev_b32_e32 v9, 28, v1
	v_lshlrev_b32_e32 v10, 27, v1
	v_cmp_ne_u32_e32 vcc_lo, 0, v2
	v_not_b32_e32 v2, v3
	v_cmp_gt_i32_e64 s12, 0, v3
	v_not_b32_e32 v3, v8
	v_lshlrev_b32_e32 v11, 26, v1
	v_xor_b32_e32 v0, vcc_lo, v0
	v_ashrrev_i32_e32 v2, 31, v2
	v_cmp_gt_i32_e32 vcc_lo, 0, v8
	v_not_b32_e32 v8, v9
	v_ashrrev_i32_e32 v3, 31, v3
	v_and_b32_e32 v0, exec_lo, v0
	v_xor_b32_e32 v2, s12, v2
	v_cmp_gt_i32_e64 s12, 0, v9
	v_not_b32_e32 v9, v10
	v_ashrrev_i32_e32 v8, 31, v8
	v_xor_b32_e32 v3, vcc_lo, v3
	v_and_b32_e32 v0, v0, v2
	v_cmp_gt_i32_e32 vcc_lo, 0, v10
	v_not_b32_e32 v2, v11
	v_ashrrev_i32_e32 v9, 31, v9
	v_xor_b32_e32 v8, s12, v8
	v_and_b32_e32 v0, v0, v3
	v_lshlrev_b32_e32 v3, 25, v1
	v_cmp_gt_i32_e64 s12, 0, v11
	v_ashrrev_i32_e32 v2, 31, v2
	v_xor_b32_e32 v9, vcc_lo, v9
	v_and_b32_e32 v0, v0, v8
	v_not_b32_e32 v10, v3
	v_lshlrev_b32_e32 v1, 24, v1
	v_bfe_u32 v8, v21, s13, 8
	v_xor_b32_e32 v2, s12, v2
	v_and_b32_e32 v0, v0, v9
	v_cmp_gt_i32_e32 vcc_lo, 0, v3
	v_ashrrev_i32_e32 v3, 31, v10
	v_not_b32_e32 v9, v1
	v_lshlrev_b32_e32 v8, 4, v8
	v_and_b32_e32 v0, v0, v2
	s_delay_alu instid0(VALU_DEP_4) | instskip(SKIP_3) | instid1(VALU_DEP_4)
	v_xor_b32_e32 v2, vcc_lo, v3
	v_cmp_gt_i32_e32 vcc_lo, 0, v1
	v_ashrrev_i32_e32 v1, 31, v9
	v_add_lshl_u32 v3, v8, v13, 2
	v_and_b32_e32 v0, v0, v2
	s_delay_alu instid0(VALU_DEP_3) | instskip(SKIP_3) | instid1(VALU_DEP_1)
	v_xor_b32_e32 v1, vcc_lo, v1
	ds_load_b32 v24, v3 offset:64
	v_add_nc_u32_e32 v26, 64, v3
	; wave barrier
	v_and_b32_e32 v0, v0, v1
	v_mbcnt_lo_u32_b32 v25, v0, 0
	v_cmp_ne_u32_e64 s12, 0, v0
	s_delay_alu instid0(VALU_DEP_2) | instskip(NEXT) | instid1(VALU_DEP_2)
	v_cmp_eq_u32_e32 vcc_lo, 0, v25
	s_and_b32 s14, s12, vcc_lo
	s_delay_alu instid0(SALU_CYCLE_1)
	s_and_saveexec_b32 s12, s14
	s_cbranch_execz .LBB15_8
; %bb.7:                                ;   in Loop: Header=BB15_4 Depth=1
	s_waitcnt lgkmcnt(0)
	v_bcnt_u32_b32 v0, v0, v24
	ds_store_b32 v26, v0
.LBB15_8:                               ;   in Loop: Header=BB15_4 Depth=1
	s_or_b32 exec_lo, exec_lo, s12
	v_bfe_u32 v0, v20, s13, 1
	v_lshrrev_b32_e32 v1, s13, v20
	; wave barrier
	s_delay_alu instid0(VALU_DEP_2) | instskip(NEXT) | instid1(VALU_DEP_1)
	v_add_co_u32 v0, s12, v0, -1
	v_cndmask_b32_e64 v2, 0, 1, s12
	s_delay_alu instid0(VALU_DEP_3)
	v_lshlrev_b32_e32 v3, 30, v1
	v_lshlrev_b32_e32 v8, 29, v1
	;; [unrolled: 1-line block ×4, first 2 shown]
	v_cmp_ne_u32_e32 vcc_lo, 0, v2
	v_not_b32_e32 v2, v3
	v_cmp_gt_i32_e64 s12, 0, v3
	v_not_b32_e32 v3, v8
	v_lshlrev_b32_e32 v11, 26, v1
	v_xor_b32_e32 v0, vcc_lo, v0
	v_ashrrev_i32_e32 v2, 31, v2
	v_cmp_gt_i32_e32 vcc_lo, 0, v8
	v_not_b32_e32 v8, v9
	v_ashrrev_i32_e32 v3, 31, v3
	v_and_b32_e32 v0, exec_lo, v0
	v_xor_b32_e32 v2, s12, v2
	v_cmp_gt_i32_e64 s12, 0, v9
	v_not_b32_e32 v9, v10
	v_ashrrev_i32_e32 v8, 31, v8
	v_xor_b32_e32 v3, vcc_lo, v3
	v_and_b32_e32 v0, v0, v2
	v_cmp_gt_i32_e32 vcc_lo, 0, v10
	v_not_b32_e32 v2, v11
	v_ashrrev_i32_e32 v9, 31, v9
	v_xor_b32_e32 v8, s12, v8
	v_and_b32_e32 v0, v0, v3
	v_lshlrev_b32_e32 v3, 25, v1
	v_cmp_gt_i32_e64 s12, 0, v11
	v_ashrrev_i32_e32 v2, 31, v2
	v_xor_b32_e32 v9, vcc_lo, v9
	v_and_b32_e32 v0, v0, v8
	v_not_b32_e32 v10, v3
	v_lshlrev_b32_e32 v1, 24, v1
	v_bfe_u32 v8, v20, s13, 8
	v_xor_b32_e32 v2, s12, v2
	v_and_b32_e32 v0, v0, v9
	v_cmp_gt_i32_e32 vcc_lo, 0, v3
	v_ashrrev_i32_e32 v3, 31, v10
	v_not_b32_e32 v9, v1
	v_lshlrev_b32_e32 v8, 4, v8
	v_and_b32_e32 v0, v0, v2
	s_delay_alu instid0(VALU_DEP_4) | instskip(SKIP_3) | instid1(VALU_DEP_4)
	v_xor_b32_e32 v2, vcc_lo, v3
	v_cmp_gt_i32_e32 vcc_lo, 0, v1
	v_ashrrev_i32_e32 v1, 31, v9
	v_add_lshl_u32 v3, v8, v13, 2
	v_and_b32_e32 v0, v0, v2
	s_delay_alu instid0(VALU_DEP_3) | instskip(SKIP_3) | instid1(VALU_DEP_1)
	v_xor_b32_e32 v1, vcc_lo, v1
	ds_load_b32 v27, v3 offset:64
	v_add_nc_u32_e32 v29, 64, v3
	; wave barrier
	v_and_b32_e32 v0, v0, v1
	v_mbcnt_lo_u32_b32 v28, v0, 0
	v_cmp_ne_u32_e64 s12, 0, v0
	s_delay_alu instid0(VALU_DEP_2) | instskip(NEXT) | instid1(VALU_DEP_2)
	v_cmp_eq_u32_e32 vcc_lo, 0, v28
	s_and_b32 s14, s12, vcc_lo
	s_delay_alu instid0(SALU_CYCLE_1)
	s_and_saveexec_b32 s12, s14
	s_cbranch_execz .LBB15_10
; %bb.9:                                ;   in Loop: Header=BB15_4 Depth=1
	s_waitcnt lgkmcnt(0)
	v_bcnt_u32_b32 v0, v0, v27
	ds_store_b32 v29, v0
.LBB15_10:                              ;   in Loop: Header=BB15_4 Depth=1
	s_or_b32 exec_lo, exec_lo, s12
	v_bfe_u32 v0, v19, s13, 1
	v_lshrrev_b32_e32 v1, s13, v19
	; wave barrier
	s_delay_alu instid0(VALU_DEP_2) | instskip(NEXT) | instid1(VALU_DEP_1)
	v_add_co_u32 v0, s12, v0, -1
	v_cndmask_b32_e64 v2, 0, 1, s12
	s_delay_alu instid0(VALU_DEP_3)
	v_lshlrev_b32_e32 v3, 30, v1
	v_lshlrev_b32_e32 v8, 29, v1
	;; [unrolled: 1-line block ×4, first 2 shown]
	v_cmp_ne_u32_e32 vcc_lo, 0, v2
	v_not_b32_e32 v2, v3
	v_cmp_gt_i32_e64 s12, 0, v3
	v_not_b32_e32 v3, v8
	v_lshlrev_b32_e32 v11, 26, v1
	v_xor_b32_e32 v0, vcc_lo, v0
	v_ashrrev_i32_e32 v2, 31, v2
	v_cmp_gt_i32_e32 vcc_lo, 0, v8
	v_not_b32_e32 v8, v9
	v_ashrrev_i32_e32 v3, 31, v3
	v_and_b32_e32 v0, exec_lo, v0
	v_xor_b32_e32 v2, s12, v2
	v_cmp_gt_i32_e64 s12, 0, v9
	v_not_b32_e32 v9, v10
	v_ashrrev_i32_e32 v8, 31, v8
	v_xor_b32_e32 v3, vcc_lo, v3
	v_and_b32_e32 v0, v0, v2
	v_cmp_gt_i32_e32 vcc_lo, 0, v10
	v_not_b32_e32 v2, v11
	v_ashrrev_i32_e32 v9, 31, v9
	v_xor_b32_e32 v8, s12, v8
	v_and_b32_e32 v0, v0, v3
	v_lshlrev_b32_e32 v3, 25, v1
	v_cmp_gt_i32_e64 s12, 0, v11
	v_ashrrev_i32_e32 v2, 31, v2
	v_xor_b32_e32 v9, vcc_lo, v9
	v_and_b32_e32 v0, v0, v8
	v_not_b32_e32 v10, v3
	v_lshlrev_b32_e32 v1, 24, v1
	v_bfe_u32 v8, v19, s13, 8
	v_xor_b32_e32 v2, s12, v2
	v_and_b32_e32 v0, v0, v9
	v_cmp_gt_i32_e32 vcc_lo, 0, v3
	v_ashrrev_i32_e32 v3, 31, v10
	v_not_b32_e32 v9, v1
	v_lshlrev_b32_e32 v8, 4, v8
	v_and_b32_e32 v0, v0, v2
	s_delay_alu instid0(VALU_DEP_4) | instskip(SKIP_3) | instid1(VALU_DEP_4)
	v_xor_b32_e32 v2, vcc_lo, v3
	v_cmp_gt_i32_e32 vcc_lo, 0, v1
	v_ashrrev_i32_e32 v1, 31, v9
	v_add_lshl_u32 v3, v8, v13, 2
	v_and_b32_e32 v0, v0, v2
	s_delay_alu instid0(VALU_DEP_3) | instskip(SKIP_3) | instid1(VALU_DEP_1)
	v_xor_b32_e32 v1, vcc_lo, v1
	ds_load_b32 v30, v3 offset:64
	v_add_nc_u32_e32 v32, 64, v3
	; wave barrier
	v_and_b32_e32 v0, v0, v1
	v_mbcnt_lo_u32_b32 v31, v0, 0
	v_cmp_ne_u32_e64 s12, 0, v0
	s_delay_alu instid0(VALU_DEP_2) | instskip(NEXT) | instid1(VALU_DEP_2)
	v_cmp_eq_u32_e32 vcc_lo, 0, v31
	s_and_b32 s14, s12, vcc_lo
	s_delay_alu instid0(SALU_CYCLE_1)
	s_and_saveexec_b32 s12, s14
	s_cbranch_execz .LBB15_12
; %bb.11:                               ;   in Loop: Header=BB15_4 Depth=1
	s_waitcnt lgkmcnt(0)
	v_bcnt_u32_b32 v0, v0, v30
	ds_store_b32 v32, v0
.LBB15_12:                              ;   in Loop: Header=BB15_4 Depth=1
	s_or_b32 exec_lo, exec_lo, s12
	; wave barrier
	s_waitcnt lgkmcnt(0)
	s_barrier
	buffer_gl0_inv
	ds_load_2addr_b32 v[10:11], v4 offset0:16 offset1:17
	ds_load_2addr_b32 v[8:9], v6 offset0:2 offset1:3
	;; [unrolled: 1-line block ×4, first 2 shown]
	s_waitcnt lgkmcnt(3)
	v_add_nc_u32_e32 v33, v11, v10
	s_waitcnt lgkmcnt(2)
	s_delay_alu instid0(VALU_DEP_1) | instskip(SKIP_1) | instid1(VALU_DEP_1)
	v_add3_u32 v33, v33, v8, v9
	s_waitcnt lgkmcnt(1)
	v_add3_u32 v33, v33, v0, v1
	s_waitcnt lgkmcnt(0)
	s_delay_alu instid0(VALU_DEP_1) | instskip(NEXT) | instid1(VALU_DEP_1)
	v_add3_u32 v3, v33, v2, v3
	v_mov_b32_dpp v33, v3 row_shr:1 row_mask:0xf bank_mask:0xf
	s_delay_alu instid0(VALU_DEP_1) | instskip(NEXT) | instid1(VALU_DEP_1)
	v_cndmask_b32_e64 v33, v33, 0, s3
	v_add_nc_u32_e32 v3, v33, v3
	s_delay_alu instid0(VALU_DEP_1) | instskip(NEXT) | instid1(VALU_DEP_1)
	v_mov_b32_dpp v33, v3 row_shr:2 row_mask:0xf bank_mask:0xf
	v_cndmask_b32_e64 v33, 0, v33, s4
	s_delay_alu instid0(VALU_DEP_1) | instskip(NEXT) | instid1(VALU_DEP_1)
	v_add_nc_u32_e32 v3, v3, v33
	v_mov_b32_dpp v33, v3 row_shr:4 row_mask:0xf bank_mask:0xf
	s_delay_alu instid0(VALU_DEP_1) | instskip(NEXT) | instid1(VALU_DEP_1)
	v_cndmask_b32_e64 v33, 0, v33, s5
	v_add_nc_u32_e32 v3, v3, v33
	s_delay_alu instid0(VALU_DEP_1) | instskip(NEXT) | instid1(VALU_DEP_1)
	v_mov_b32_dpp v33, v3 row_shr:8 row_mask:0xf bank_mask:0xf
	v_cndmask_b32_e64 v33, 0, v33, s6
	s_delay_alu instid0(VALU_DEP_1) | instskip(SKIP_3) | instid1(VALU_DEP_1)
	v_add_nc_u32_e32 v3, v3, v33
	ds_swizzle_b32 v33, v3 offset:swizzle(BROADCAST,32,15)
	s_waitcnt lgkmcnt(0)
	v_cndmask_b32_e64 v33, v33, 0, s7
	v_add_nc_u32_e32 v3, v3, v33
	s_and_saveexec_b32 s12, s8
	s_cbranch_execz .LBB15_14
; %bb.13:                               ;   in Loop: Header=BB15_4 Depth=1
	ds_store_b32 v15, v3
.LBB15_14:                              ;   in Loop: Header=BB15_4 Depth=1
	s_or_b32 exec_lo, exec_lo, s12
	s_waitcnt lgkmcnt(0)
	s_barrier
	buffer_gl0_inv
	s_and_saveexec_b32 s12, s9
	s_cbranch_execz .LBB15_16
; %bb.15:                               ;   in Loop: Header=BB15_4 Depth=1
	ds_load_b32 v33, v12
	s_waitcnt lgkmcnt(0)
	v_mov_b32_dpp v34, v33 row_shr:1 row_mask:0xf bank_mask:0xf
	s_delay_alu instid0(VALU_DEP_1) | instskip(NEXT) | instid1(VALU_DEP_1)
	v_cndmask_b32_e64 v34, v34, 0, s3
	v_add_nc_u32_e32 v33, v34, v33
	s_delay_alu instid0(VALU_DEP_1) | instskip(NEXT) | instid1(VALU_DEP_1)
	v_mov_b32_dpp v34, v33 row_shr:2 row_mask:0xf bank_mask:0xf
	v_cndmask_b32_e64 v34, 0, v34, s4
	s_delay_alu instid0(VALU_DEP_1) | instskip(NEXT) | instid1(VALU_DEP_1)
	v_add_nc_u32_e32 v33, v33, v34
	v_mov_b32_dpp v34, v33 row_shr:4 row_mask:0xf bank_mask:0xf
	s_delay_alu instid0(VALU_DEP_1) | instskip(NEXT) | instid1(VALU_DEP_1)
	v_cndmask_b32_e64 v34, 0, v34, s5
	v_add_nc_u32_e32 v33, v33, v34
	s_delay_alu instid0(VALU_DEP_1) | instskip(NEXT) | instid1(VALU_DEP_1)
	v_mov_b32_dpp v34, v33 row_shr:8 row_mask:0xf bank_mask:0xf
	v_cndmask_b32_e64 v34, 0, v34, s6
	s_delay_alu instid0(VALU_DEP_1)
	v_add_nc_u32_e32 v33, v33, v34
	ds_store_b32 v12, v33
.LBB15_16:                              ;   in Loop: Header=BB15_4 Depth=1
	s_or_b32 exec_lo, exec_lo, s12
	v_mov_b32_e32 v33, 0
	s_waitcnt lgkmcnt(0)
	s_barrier
	buffer_gl0_inv
	s_and_saveexec_b32 s12, s10
	s_cbranch_execz .LBB15_18
; %bb.17:                               ;   in Loop: Header=BB15_4 Depth=1
	ds_load_b32 v33, v17
.LBB15_18:                              ;   in Loop: Header=BB15_4 Depth=1
	s_or_b32 exec_lo, exec_lo, s12
	s_waitcnt lgkmcnt(0)
	v_add_nc_u32_e32 v3, v33, v3
	s_cmp_gt_u32 s13, 23
	ds_bpermute_b32 v3, v14, v3
	s_waitcnt lgkmcnt(0)
	v_cndmask_b32_e64 v3, v3, v33, s11
	s_delay_alu instid0(VALU_DEP_1) | instskip(NEXT) | instid1(VALU_DEP_1)
	v_cndmask_b32_e64 v3, v3, 0, s0
	v_add_nc_u32_e32 v10, v3, v10
	s_delay_alu instid0(VALU_DEP_1) | instskip(NEXT) | instid1(VALU_DEP_1)
	v_add_nc_u32_e32 v11, v10, v11
	v_add_nc_u32_e32 v8, v11, v8
	s_delay_alu instid0(VALU_DEP_1) | instskip(NEXT) | instid1(VALU_DEP_1)
	v_add_nc_u32_e32 v9, v8, v9
	;; [unrolled: 3-line block ×3, first 2 shown]
	v_add_nc_u32_e32 v2, v1, v2
	ds_store_2addr_b32 v4, v3, v10 offset0:16 offset1:17
	ds_store_2addr_b32 v6, v11, v8 offset0:2 offset1:3
	;; [unrolled: 1-line block ×4, first 2 shown]
	s_waitcnt lgkmcnt(0)
	s_barrier
	buffer_gl0_inv
	ds_load_b32 v0, v23
	ds_load_b32 v1, v26
	;; [unrolled: 1-line block ×4, first 2 shown]
	s_waitcnt lgkmcnt(3)
	v_add_nc_u32_e32 v11, v0, v22
	s_waitcnt lgkmcnt(2)
	v_add3_u32 v10, v25, v24, v1
	s_waitcnt lgkmcnt(1)
	v_add3_u32 v9, v28, v27, v2
	;; [unrolled: 2-line block ×3, first 2 shown]
	s_cbranch_scc0 .LBB15_3
; %bb.19:
                                        ; implicit-def: $vgpr3
                                        ; implicit-def: $vgpr1
                                        ; implicit-def: $sgpr13
.LBB15_20:
	v_lshlrev_b32_e32 v0, 2, v11
	v_lshlrev_b32_e32 v1, 2, v10
	;; [unrolled: 1-line block ×3, first 2 shown]
	s_barrier
	buffer_gl0_inv
	v_lshlrev_b32_e32 v3, 2, v8
	ds_store_b32 v0, v16
	ds_store_b32 v1, v21
	;; [unrolled: 1-line block ×3, first 2 shown]
	v_lshlrev_b32_e32 v2, 2, v12
	ds_store_b32 v3, v19
	s_waitcnt lgkmcnt(0)
	s_barrier
	buffer_gl0_inv
	ds_load_2addr_b32 v[0:1], v2 offset1:1
	ds_load_2addr_b32 v[2:3], v2 offset0:2 offset1:3
	s_waitcnt lgkmcnt(0)
	s_barrier
	buffer_gl0_inv
	s_and_saveexec_b32 s3, s2
	s_cbranch_execz .LBB15_22
; %bb.21:
	v_mov_b32_e32 v4, 0x800
	ds_store_2addr_stride64_b32 v12, v4, v4 offset0:16 offset1:24
.LBB15_22:
	s_or_b32 exec_lo, exec_lo, s3
	v_lshlrev_b32_e32 v4, 2, v2
	s_mov_b32 s3, exec_lo
	s_waitcnt lgkmcnt(0)
	s_barrier
	buffer_gl0_inv
	ds_store_b32 v12, v3
	v_cmpx_ne_u32_e64 v2, v3
	s_cbranch_execz .LBB15_24
; %bb.23:
	v_or_b32_e32 v6, 3, v12
	v_lshlrev_b32_e32 v3, 2, v3
	ds_store_b32 v3, v6 offset:4096
	ds_store_b32 v4, v6 offset:6144
.LBB15_24:
	s_or_b32 exec_lo, exec_lo, s3
	v_cmp_ne_u32_e32 vcc_lo, v1, v2
	v_lshlrev_b32_e32 v2, 2, v1
	s_and_saveexec_b32 s3, vcc_lo
	s_cbranch_execz .LBB15_26
; %bb.25:
	v_or_b32_e32 v3, 2, v12
	ds_store_b32 v4, v3 offset:4096
	ds_store_b32 v2, v3 offset:6144
.LBB15_26:
	s_or_b32 exec_lo, exec_lo, s3
	v_cmp_ne_u32_e32 vcc_lo, v0, v1
	v_lshlrev_b32_e32 v1, 2, v0
	s_and_saveexec_b32 s3, vcc_lo
	s_cbranch_execz .LBB15_28
; %bb.27:
	v_or_b32_e32 v3, 1, v12
	ds_store_b32 v2, v3 offset:4096
	ds_store_b32 v1, v3 offset:6144
.LBB15_28:
	s_or_b32 exec_lo, exec_lo, s3
	s_waitcnt lgkmcnt(0)
	s_barrier
	buffer_gl0_inv
	s_and_saveexec_b32 s3, s1
	s_cbranch_execz .LBB15_31
; %bb.29:
	v_add_nc_u32_e32 v2, -4, v12
	ds_load_b32 v3, v2
	s_waitcnt lgkmcnt(0)
	v_cmp_ne_u32_e32 vcc_lo, v3, v0
	s_and_b32 exec_lo, exec_lo, vcc_lo
	s_cbranch_execz .LBB15_31
; %bb.30:
	ds_store_b32 v1, v12 offset:4096
	ds_load_b32 v0, v2
	s_waitcnt lgkmcnt(0)
	v_lshlrev_b32_e32 v0, 2, v0
	ds_store_b32 v0, v12 offset:6144
.LBB15_31:
	s_or_b32 exec_lo, exec_lo, s3
	s_waitcnt lgkmcnt(0)
	s_barrier
	buffer_gl0_inv
	s_and_saveexec_b32 s1, s0
	s_cbranch_execz .LBB15_33
; %bb.32:
	v_mov_b32_e32 v0, 0
	ds_store_b32 v1, v0 offset:4096
.LBB15_33:
	s_or_b32 exec_lo, exec_lo, s1
	s_waitcnt lgkmcnt(0)
	s_barrier
	buffer_gl0_inv
	s_and_saveexec_b32 s0, s2
	s_cbranch_execz .LBB15_35
; %bb.34:
	ds_load_2addr_stride64_b32 v[0:1], v12 offset0:16 offset1:24
	ds_load_b32 v2, v12 offset:16448
	s_waitcnt lgkmcnt(1)
	v_sub_nc_u32_e32 v0, v1, v0
	s_waitcnt lgkmcnt(0)
	s_delay_alu instid0(VALU_DEP_1)
	v_add_nc_u32_e32 v0, v0, v2
	ds_store_b32 v12, v0 offset:16448
.LBB15_35:
	s_or_b32 exec_lo, exec_lo, s0
	s_waitcnt lgkmcnt(0)
	s_barrier
	buffer_gl0_inv
	s_and_saveexec_b32 s0, s2
	s_cbranch_execz .LBB15_37
; %bb.36:
	ds_load_b32 v2, v12 offset:16448
	v_lshl_or_b32 v0, s15, 9, v5
	v_mov_b32_e32 v1, 0
	s_delay_alu instid0(VALU_DEP_1) | instskip(NEXT) | instid1(VALU_DEP_1)
	v_lshlrev_b64 v[0:1], 2, v[0:1]
	v_add_co_u32 v0, vcc_lo, s18, v0
	s_delay_alu instid0(VALU_DEP_2)
	v_add_co_ci_u32_e32 v1, vcc_lo, s19, v1, vcc_lo
	s_waitcnt lgkmcnt(0)
	global_store_b32 v[0:1], v2, off
.LBB15_37:
	s_nop 0
	s_sendmsg sendmsg(MSG_DEALLOC_VGPRS)
	s_endpgm
	.section	.rodata,"a",@progbits
	.p2align	6, 0x0
	.amdhsa_kernel _Z16histogram_kernelILj512ELj4ELj512ELN6hipcub23BlockHistogramAlgorithmE1EjEvPT3_S3_
		.amdhsa_group_segment_fixed_size 18496
		.amdhsa_private_segment_fixed_size 0
		.amdhsa_kernarg_size 272
		.amdhsa_user_sgpr_count 15
		.amdhsa_user_sgpr_dispatch_ptr 0
		.amdhsa_user_sgpr_queue_ptr 0
		.amdhsa_user_sgpr_kernarg_segment_ptr 1
		.amdhsa_user_sgpr_dispatch_id 0
		.amdhsa_user_sgpr_private_segment_size 0
		.amdhsa_wavefront_size32 1
		.amdhsa_uses_dynamic_stack 0
		.amdhsa_enable_private_segment 0
		.amdhsa_system_sgpr_workgroup_id_x 1
		.amdhsa_system_sgpr_workgroup_id_y 0
		.amdhsa_system_sgpr_workgroup_id_z 0
		.amdhsa_system_sgpr_workgroup_info 0
		.amdhsa_system_vgpr_workitem_id 2
		.amdhsa_next_free_vgpr 35
		.amdhsa_next_free_sgpr 20
		.amdhsa_reserve_vcc 1
		.amdhsa_float_round_mode_32 0
		.amdhsa_float_round_mode_16_64 0
		.amdhsa_float_denorm_mode_32 3
		.amdhsa_float_denorm_mode_16_64 3
		.amdhsa_dx10_clamp 1
		.amdhsa_ieee_mode 1
		.amdhsa_fp16_overflow 0
		.amdhsa_workgroup_processor_mode 1
		.amdhsa_memory_ordered 1
		.amdhsa_forward_progress 0
		.amdhsa_shared_vgpr_count 0
		.amdhsa_exception_fp_ieee_invalid_op 0
		.amdhsa_exception_fp_denorm_src 0
		.amdhsa_exception_fp_ieee_div_zero 0
		.amdhsa_exception_fp_ieee_overflow 0
		.amdhsa_exception_fp_ieee_underflow 0
		.amdhsa_exception_fp_ieee_inexact 0
		.amdhsa_exception_int_div_zero 0
	.end_amdhsa_kernel
	.section	.text._Z16histogram_kernelILj512ELj4ELj512ELN6hipcub23BlockHistogramAlgorithmE1EjEvPT3_S3_,"axG",@progbits,_Z16histogram_kernelILj512ELj4ELj512ELN6hipcub23BlockHistogramAlgorithmE1EjEvPT3_S3_,comdat
.Lfunc_end15:
	.size	_Z16histogram_kernelILj512ELj4ELj512ELN6hipcub23BlockHistogramAlgorithmE1EjEvPT3_S3_, .Lfunc_end15-_Z16histogram_kernelILj512ELj4ELj512ELN6hipcub23BlockHistogramAlgorithmE1EjEvPT3_S3_
                                        ; -- End function
	.section	.AMDGPU.csdata,"",@progbits
; Kernel info:
; codeLenInByte = 3352
; NumSgprs: 22
; NumVgprs: 35
; ScratchSize: 0
; MemoryBound: 0
; FloatMode: 240
; IeeeMode: 1
; LDSByteSize: 18496 bytes/workgroup (compile time only)
; SGPRBlocks: 2
; VGPRBlocks: 4
; NumSGPRsForWavesPerEU: 22
; NumVGPRsForWavesPerEU: 35
; Occupancy: 16
; WaveLimiterHint : 0
; COMPUTE_PGM_RSRC2:SCRATCH_EN: 0
; COMPUTE_PGM_RSRC2:USER_SGPR: 15
; COMPUTE_PGM_RSRC2:TRAP_HANDLER: 0
; COMPUTE_PGM_RSRC2:TGID_X_EN: 1
; COMPUTE_PGM_RSRC2:TGID_Y_EN: 0
; COMPUTE_PGM_RSRC2:TGID_Z_EN: 0
; COMPUTE_PGM_RSRC2:TIDIG_COMP_CNT: 2
	.section	.text._Z16histogram_kernelILj256ELj3ELj512ELN6hipcub23BlockHistogramAlgorithmE1EjEvPT3_S3_,"axG",@progbits,_Z16histogram_kernelILj256ELj3ELj512ELN6hipcub23BlockHistogramAlgorithmE1EjEvPT3_S3_,comdat
	.protected	_Z16histogram_kernelILj256ELj3ELj512ELN6hipcub23BlockHistogramAlgorithmE1EjEvPT3_S3_ ; -- Begin function _Z16histogram_kernelILj256ELj3ELj512ELN6hipcub23BlockHistogramAlgorithmE1EjEvPT3_S3_
	.globl	_Z16histogram_kernelILj256ELj3ELj512ELN6hipcub23BlockHistogramAlgorithmE1EjEvPT3_S3_
	.p2align	8
	.type	_Z16histogram_kernelILj256ELj3ELj512ELN6hipcub23BlockHistogramAlgorithmE1EjEvPT3_S3_,@function
_Z16histogram_kernelILj256ELj3ELj512ELN6hipcub23BlockHistogramAlgorithmE1EjEvPT3_S3_: ; @_Z16histogram_kernelILj256ELj3ELj512ELN6hipcub23BlockHistogramAlgorithmE1EjEvPT3_S3_
; %bb.0:
	v_and_b32_e32 v1, 0x3ff, v0
	s_load_b128 s[16:19], s[0:1], 0x0
	s_delay_alu instid0(VALU_DEP_1) | instskip(SKIP_2) | instid1(VALU_DEP_3)
	v_lshl_or_b32 v2, s15, 8, v1
	v_cmp_gt_u32_e64 s3, 0x200, v1
	v_lshlrev_b32_e32 v10, 2, v1
	v_lshl_add_u32 v2, v2, 1, v2
	s_delay_alu instid0(VALU_DEP_1) | instskip(NEXT) | instid1(VALU_DEP_1)
	v_dual_mov_b32 v3, 0 :: v_dual_add_nc_u32 v4, 1, v2
	v_mov_b32_e32 v5, v3
	v_lshlrev_b64 v[6:7], 2, v[2:3]
	v_add_nc_u32_e32 v2, 2, v2
	s_delay_alu instid0(VALU_DEP_3) | instskip(NEXT) | instid1(VALU_DEP_2)
	v_lshlrev_b64 v[4:5], 2, v[4:5]
	v_lshlrev_b64 v[8:9], 2, v[2:3]
	s_waitcnt lgkmcnt(0)
	s_delay_alu instid0(VALU_DEP_4) | instskip(SKIP_1) | instid1(VALU_DEP_4)
	v_add_co_u32 v6, vcc_lo, s16, v6
	v_add_co_ci_u32_e32 v7, vcc_lo, s17, v7, vcc_lo
	v_add_co_u32 v4, vcc_lo, s16, v4
	v_add_co_ci_u32_e32 v5, vcc_lo, s17, v5, vcc_lo
	;; [unrolled: 2-line block ×3, first 2 shown]
	s_clause 0x2
	global_load_b32 v2, v[6:7], off
	global_load_b32 v4, v[4:5], off
	;; [unrolled: 1-line block ×3, first 2 shown]
	s_and_saveexec_b32 s2, s3
	s_cbranch_execz .LBB16_2
; %bb.1:
	ds_store_b32 v10, v3 offset:8224
.LBB16_2:
	s_or_b32 exec_lo, exec_lo, s2
	v_cmp_gt_u32_e64 s2, 0x100, v1
	s_delay_alu instid0(VALU_DEP_1)
	s_and_saveexec_b32 s4, s2
	s_cbranch_execz .LBB16_4
; %bb.3:
	v_mov_b32_e32 v3, 0
	ds_store_b32 v10, v3 offset:9248
.LBB16_4:
	s_or_b32 exec_lo, exec_lo, s4
	v_lshrrev_b32_e32 v7, 5, v1
	v_mbcnt_lo_u32_b32 v8, -1, 0
	s_waitcnt vmcnt(0) lgkmcnt(0)
	s_barrier
	buffer_gl0_inv
	v_mul_u32_u24_e32 v3, 0x60, v7
	v_mul_u32_u24_e32 v6, 3, v8
	v_add_nc_u32_e32 v15, -1, v8
	v_and_b32_e32 v13, 16, v8
	v_and_b32_e32 v12, 15, v8
	v_or_b32_e32 v9, v8, v3
	v_add_lshl_u32 v3, v6, v3, 2
	v_cmp_gt_i32_e32 vcc_lo, 0, v15
	v_and_b32_e32 v16, 7, v8
	v_cmp_eq_u32_e64 s11, 0, v13
	v_lshlrev_b32_e32 v6, 2, v9
	ds_store_2addr_b32 v3, v2, v4 offset1:1
	ds_store_b32 v3, v5 offset:8
	; wave barrier
	v_bfe_u32 v5, v0, 10, 10
	ds_load_2addr_b32 v[2:3], v6 offset1:32
	ds_load_b32 v4, v6 offset:256
	s_waitcnt lgkmcnt(0)
	s_barrier
	buffer_gl0_inv
	; wave barrier
	s_barrier
	buffer_gl0_inv
	s_load_b32 s1, s[0:1], 0x1c
	v_bfe_u32 v6, v0, 20, 10
	v_and_b32_e32 v9, 0x3e0, v1
	v_lshlrev_b32_e32 v0, 5, v1
	v_cmp_gt_u32_e64 s4, 8, v1
	v_cmp_lt_u32_e64 s5, 31, v1
	v_cmp_eq_u32_e64 s0, 0, v1
	v_cmp_eq_u32_e64 s6, 0, v8
	v_dual_mov_b32 v18, 0 :: v_dual_add_nc_u32 v11, 32, v0
	v_cmp_eq_u32_e64 s7, 0, v12
	v_cmp_lt_u32_e64 s9, 3, v12
	v_cmp_lt_u32_e64 s10, 7, v12
	v_cmp_eq_u32_e64 s13, 0, v16
	v_cmp_lt_u32_e64 s14, 1, v16
	v_cmp_lt_u32_e64 s16, 3, v16
	s_mov_b32 s20, 0
	s_waitcnt lgkmcnt(0)
	s_lshr_b32 s8, s1, 16
	s_and_b32 s1, s1, 0xffff
	v_mad_u32_u24 v17, v6, s8, v5
	v_cmp_lt_u32_e64 s8, 1, v12
	s_delay_alu instid0(VALU_DEP_2)
	v_mad_u64_u32 v[5:6], null, v17, s1, v[1:2]
	v_cndmask_b32_e32 v6, v15, v8, vcc_lo
	v_min_u32_e32 v14, 0xe0, v9
	v_mul_u32_u24_e32 v9, 3, v9
	v_lshlrev_b32_e32 v15, 2, v7
	v_cmp_ne_u32_e64 s1, 0, v1
	v_lshlrev_b32_e32 v12, 2, v6
	v_or_b32_e32 v14, 31, v14
	v_lshrrev_b32_e32 v13, 5, v5
	v_or_b32_e32 v5, v8, v9
	v_add_nc_u32_e32 v16, -4, v15
	s_delay_alu instid0(VALU_DEP_4) | instskip(NEXT) | instid1(VALU_DEP_3)
	v_cmp_eq_u32_e64 s12, v14, v1
	v_lshlrev_b32_e32 v17, 2, v5
	s_branch .LBB16_6
.LBB16_5:                               ;   in Loop: Header=BB16_6 Depth=1
	v_lshlrev_b32_e32 v2, 2, v7
	v_lshlrev_b32_e32 v3, 2, v6
	s_delay_alu instid0(VALU_DEP_3)
	v_lshlrev_b32_e32 v4, 2, v5
	s_barrier
	buffer_gl0_inv
	ds_store_b32 v2, v14
	ds_store_b32 v3, v20
	;; [unrolled: 1-line block ×3, first 2 shown]
	s_waitcnt lgkmcnt(0)
	s_barrier
	buffer_gl0_inv
	ds_load_2addr_b32 v[2:3], v17 offset1:32
	ds_load_b32 v4, v17 offset:256
	s_add_i32 s20, s20, 8
	s_waitcnt lgkmcnt(0)
	s_barrier
	buffer_gl0_inv
	s_cbranch_execz .LBB16_20
.LBB16_6:                               ; =>This Inner Loop Header: Depth=1
	v_mov_b32_e32 v14, v2
	ds_store_2addr_b32 v0, v18, v18 offset0:8 offset1:9
	ds_store_2addr_b32 v11, v18, v18 offset0:2 offset1:3
	;; [unrolled: 1-line block ×4, first 2 shown]
	s_waitcnt lgkmcnt(0)
	s_barrier
	buffer_gl0_inv
	v_lshrrev_b32_e32 v5, s20, v14
	; wave barrier
	s_delay_alu instid0(VALU_DEP_1)
	v_lshlrev_b32_e32 v7, 30, v5
	v_bfe_u32 v2, v14, s20, 1
	v_lshlrev_b32_e32 v8, 29, v5
	v_lshlrev_b32_e32 v9, 28, v5
	v_lshlrev_b32_e32 v19, 27, v5
	v_lshlrev_b32_e32 v20, 26, v5
	v_add_co_u32 v2, s17, v2, -1
	s_delay_alu instid0(VALU_DEP_1) | instskip(SKIP_3) | instid1(VALU_DEP_4)
	v_cndmask_b32_e64 v6, 0, 1, s17
	v_cmp_gt_i32_e64 s17, 0, v7
	v_lshlrev_b32_e32 v21, 25, v5
	v_lshlrev_b32_e32 v5, 24, v5
	v_cmp_ne_u32_e32 vcc_lo, 0, v6
	v_not_b32_e32 v6, v7
	v_not_b32_e32 v7, v8
	v_xor_b32_e32 v2, vcc_lo, v2
	s_delay_alu instid0(VALU_DEP_3)
	v_ashrrev_i32_e32 v6, 31, v6
	v_cmp_gt_i32_e32 vcc_lo, 0, v8
	v_not_b32_e32 v8, v9
	v_ashrrev_i32_e32 v7, 31, v7
	v_and_b32_e32 v2, exec_lo, v2
	v_xor_b32_e32 v6, s17, v6
	v_cmp_gt_i32_e64 s17, 0, v9
	v_not_b32_e32 v9, v19
	v_ashrrev_i32_e32 v8, 31, v8
	v_xor_b32_e32 v7, vcc_lo, v7
	v_and_b32_e32 v2, v2, v6
	v_cmp_gt_i32_e32 vcc_lo, 0, v19
	v_not_b32_e32 v6, v20
	v_ashrrev_i32_e32 v9, 31, v9
	v_xor_b32_e32 v8, s17, v8
	v_and_b32_e32 v2, v2, v7
	v_cmp_gt_i32_e64 s17, 0, v20
	v_mov_b32_e32 v20, v3
	v_not_b32_e32 v7, v21
	v_ashrrev_i32_e32 v6, 31, v6
	v_xor_b32_e32 v9, vcc_lo, v9
	v_and_b32_e32 v2, v2, v8
	v_cmp_gt_i32_e32 vcc_lo, 0, v21
	v_not_b32_e32 v8, v5
	v_ashrrev_i32_e32 v7, 31, v7
	v_xor_b32_e32 v6, s17, v6
	v_and_b32_e32 v2, v2, v9
	v_cmp_gt_i32_e64 s17, 0, v5
	v_ashrrev_i32_e32 v5, 31, v8
	v_xor_b32_e32 v7, vcc_lo, v7
	v_bfe_u32 v3, v14, s20, 8
	v_dual_mov_b32 v19, v4 :: v_dual_and_b32 v2, v2, v6
	s_delay_alu instid0(VALU_DEP_4) | instskip(NEXT) | instid1(VALU_DEP_3)
	v_xor_b32_e32 v5, s17, v5
	v_lshl_add_u32 v3, v3, 3, v13
	s_delay_alu instid0(VALU_DEP_3) | instskip(NEXT) | instid1(VALU_DEP_2)
	v_and_b32_e32 v2, v2, v7
	v_lshl_add_u32 v22, v3, 2, 32
	s_delay_alu instid0(VALU_DEP_2) | instskip(NEXT) | instid1(VALU_DEP_1)
	v_and_b32_e32 v2, v2, v5
	v_mbcnt_lo_u32_b32 v21, v2, 0
	v_cmp_ne_u32_e64 s17, 0, v2
	s_delay_alu instid0(VALU_DEP_2) | instskip(NEXT) | instid1(VALU_DEP_2)
	v_cmp_eq_u32_e32 vcc_lo, 0, v21
	s_and_b32 s21, s17, vcc_lo
	s_delay_alu instid0(SALU_CYCLE_1)
	s_and_saveexec_b32 s17, s21
	s_cbranch_execz .LBB16_8
; %bb.7:                                ;   in Loop: Header=BB16_6 Depth=1
	v_bcnt_u32_b32 v2, v2, 0
	ds_store_b32 v22, v2
.LBB16_8:                               ;   in Loop: Header=BB16_6 Depth=1
	s_or_b32 exec_lo, exec_lo, s17
	v_bfe_u32 v2, v20, s20, 1
	v_lshrrev_b32_e32 v3, s20, v20
	; wave barrier
	s_delay_alu instid0(VALU_DEP_2) | instskip(NEXT) | instid1(VALU_DEP_1)
	v_add_co_u32 v2, s17, v2, -1
	v_cndmask_b32_e64 v4, 0, 1, s17
	s_delay_alu instid0(VALU_DEP_3)
	v_lshlrev_b32_e32 v5, 30, v3
	v_lshlrev_b32_e32 v6, 29, v3
	;; [unrolled: 1-line block ×4, first 2 shown]
	v_cmp_ne_u32_e32 vcc_lo, 0, v4
	v_not_b32_e32 v4, v5
	v_cmp_gt_i32_e64 s17, 0, v5
	v_not_b32_e32 v5, v6
	v_lshlrev_b32_e32 v9, 26, v3
	v_xor_b32_e32 v2, vcc_lo, v2
	v_ashrrev_i32_e32 v4, 31, v4
	v_cmp_gt_i32_e32 vcc_lo, 0, v6
	v_not_b32_e32 v6, v7
	v_ashrrev_i32_e32 v5, 31, v5
	v_and_b32_e32 v2, exec_lo, v2
	v_xor_b32_e32 v4, s17, v4
	v_cmp_gt_i32_e64 s17, 0, v7
	v_not_b32_e32 v7, v8
	v_ashrrev_i32_e32 v6, 31, v6
	v_xor_b32_e32 v5, vcc_lo, v5
	v_and_b32_e32 v2, v2, v4
	v_cmp_gt_i32_e32 vcc_lo, 0, v8
	v_not_b32_e32 v4, v9
	v_ashrrev_i32_e32 v7, 31, v7
	v_xor_b32_e32 v6, s17, v6
	v_and_b32_e32 v2, v2, v5
	v_lshlrev_b32_e32 v5, 25, v3
	v_cmp_gt_i32_e64 s17, 0, v9
	v_ashrrev_i32_e32 v4, 31, v4
	v_xor_b32_e32 v7, vcc_lo, v7
	v_and_b32_e32 v2, v2, v6
	v_not_b32_e32 v8, v5
	v_lshlrev_b32_e32 v3, 24, v3
	v_bfe_u32 v6, v20, s20, 8
	v_xor_b32_e32 v4, s17, v4
	v_and_b32_e32 v2, v2, v7
	v_cmp_gt_i32_e32 vcc_lo, 0, v5
	v_ashrrev_i32_e32 v5, 31, v8
	v_not_b32_e32 v7, v3
	v_lshlrev_b32_e32 v6, 3, v6
	v_and_b32_e32 v2, v2, v4
	s_delay_alu instid0(VALU_DEP_4) | instskip(SKIP_3) | instid1(VALU_DEP_4)
	v_xor_b32_e32 v4, vcc_lo, v5
	v_cmp_gt_i32_e32 vcc_lo, 0, v3
	v_ashrrev_i32_e32 v3, 31, v7
	v_add_lshl_u32 v5, v6, v13, 2
	v_and_b32_e32 v2, v2, v4
	s_delay_alu instid0(VALU_DEP_3) | instskip(SKIP_3) | instid1(VALU_DEP_1)
	v_xor_b32_e32 v3, vcc_lo, v3
	ds_load_b32 v23, v5 offset:32
	v_add_nc_u32_e32 v25, 32, v5
	; wave barrier
	v_and_b32_e32 v2, v2, v3
	v_mbcnt_lo_u32_b32 v24, v2, 0
	v_cmp_ne_u32_e64 s17, 0, v2
	s_delay_alu instid0(VALU_DEP_2) | instskip(NEXT) | instid1(VALU_DEP_2)
	v_cmp_eq_u32_e32 vcc_lo, 0, v24
	s_and_b32 s21, s17, vcc_lo
	s_delay_alu instid0(SALU_CYCLE_1)
	s_and_saveexec_b32 s17, s21
	s_cbranch_execz .LBB16_10
; %bb.9:                                ;   in Loop: Header=BB16_6 Depth=1
	s_waitcnt lgkmcnt(0)
	v_bcnt_u32_b32 v2, v2, v23
	ds_store_b32 v25, v2
.LBB16_10:                              ;   in Loop: Header=BB16_6 Depth=1
	s_or_b32 exec_lo, exec_lo, s17
	v_bfe_u32 v2, v19, s20, 1
	v_lshrrev_b32_e32 v3, s20, v19
	; wave barrier
	s_delay_alu instid0(VALU_DEP_2) | instskip(NEXT) | instid1(VALU_DEP_1)
	v_add_co_u32 v2, s17, v2, -1
	v_cndmask_b32_e64 v4, 0, 1, s17
	s_delay_alu instid0(VALU_DEP_3)
	v_lshlrev_b32_e32 v5, 30, v3
	v_lshlrev_b32_e32 v6, 29, v3
	;; [unrolled: 1-line block ×4, first 2 shown]
	v_cmp_ne_u32_e32 vcc_lo, 0, v4
	v_not_b32_e32 v4, v5
	v_cmp_gt_i32_e64 s17, 0, v5
	v_not_b32_e32 v5, v6
	v_lshlrev_b32_e32 v9, 26, v3
	v_xor_b32_e32 v2, vcc_lo, v2
	v_ashrrev_i32_e32 v4, 31, v4
	v_cmp_gt_i32_e32 vcc_lo, 0, v6
	v_not_b32_e32 v6, v7
	v_ashrrev_i32_e32 v5, 31, v5
	v_and_b32_e32 v2, exec_lo, v2
	v_xor_b32_e32 v4, s17, v4
	v_cmp_gt_i32_e64 s17, 0, v7
	v_not_b32_e32 v7, v8
	v_ashrrev_i32_e32 v6, 31, v6
	v_xor_b32_e32 v5, vcc_lo, v5
	v_and_b32_e32 v2, v2, v4
	v_cmp_gt_i32_e32 vcc_lo, 0, v8
	v_not_b32_e32 v4, v9
	v_ashrrev_i32_e32 v7, 31, v7
	v_xor_b32_e32 v6, s17, v6
	v_and_b32_e32 v2, v2, v5
	v_lshlrev_b32_e32 v5, 25, v3
	v_cmp_gt_i32_e64 s17, 0, v9
	v_ashrrev_i32_e32 v4, 31, v4
	v_xor_b32_e32 v7, vcc_lo, v7
	v_and_b32_e32 v2, v2, v6
	v_not_b32_e32 v8, v5
	v_lshlrev_b32_e32 v3, 24, v3
	v_bfe_u32 v6, v19, s20, 8
	v_xor_b32_e32 v4, s17, v4
	v_and_b32_e32 v2, v2, v7
	v_cmp_gt_i32_e32 vcc_lo, 0, v5
	v_ashrrev_i32_e32 v5, 31, v8
	v_not_b32_e32 v7, v3
	v_lshlrev_b32_e32 v6, 3, v6
	v_and_b32_e32 v2, v2, v4
	s_delay_alu instid0(VALU_DEP_4) | instskip(SKIP_3) | instid1(VALU_DEP_4)
	v_xor_b32_e32 v4, vcc_lo, v5
	v_cmp_gt_i32_e32 vcc_lo, 0, v3
	v_ashrrev_i32_e32 v3, 31, v7
	v_add_lshl_u32 v5, v6, v13, 2
	v_and_b32_e32 v2, v2, v4
	s_delay_alu instid0(VALU_DEP_3) | instskip(SKIP_3) | instid1(VALU_DEP_1)
	v_xor_b32_e32 v3, vcc_lo, v3
	ds_load_b32 v26, v5 offset:32
	v_add_nc_u32_e32 v28, 32, v5
	; wave barrier
	v_and_b32_e32 v2, v2, v3
	v_mbcnt_lo_u32_b32 v27, v2, 0
	v_cmp_ne_u32_e64 s17, 0, v2
	s_delay_alu instid0(VALU_DEP_2) | instskip(NEXT) | instid1(VALU_DEP_2)
	v_cmp_eq_u32_e32 vcc_lo, 0, v27
	s_and_b32 s21, s17, vcc_lo
	s_delay_alu instid0(SALU_CYCLE_1)
	s_and_saveexec_b32 s17, s21
	s_cbranch_execz .LBB16_12
; %bb.11:                               ;   in Loop: Header=BB16_6 Depth=1
	s_waitcnt lgkmcnt(0)
	v_bcnt_u32_b32 v2, v2, v26
	ds_store_b32 v28, v2
.LBB16_12:                              ;   in Loop: Header=BB16_6 Depth=1
	s_or_b32 exec_lo, exec_lo, s17
	; wave barrier
	s_waitcnt lgkmcnt(0)
	s_barrier
	buffer_gl0_inv
	ds_load_2addr_b32 v[8:9], v0 offset0:8 offset1:9
	ds_load_2addr_b32 v[6:7], v11 offset0:2 offset1:3
	;; [unrolled: 1-line block ×4, first 2 shown]
	s_waitcnt lgkmcnt(3)
	v_add_nc_u32_e32 v29, v9, v8
	s_waitcnt lgkmcnt(2)
	s_delay_alu instid0(VALU_DEP_1) | instskip(SKIP_1) | instid1(VALU_DEP_1)
	v_add3_u32 v29, v29, v6, v7
	s_waitcnt lgkmcnt(1)
	v_add3_u32 v29, v29, v2, v3
	s_waitcnt lgkmcnt(0)
	s_delay_alu instid0(VALU_DEP_1) | instskip(NEXT) | instid1(VALU_DEP_1)
	v_add3_u32 v5, v29, v4, v5
	v_mov_b32_dpp v29, v5 row_shr:1 row_mask:0xf bank_mask:0xf
	s_delay_alu instid0(VALU_DEP_1) | instskip(NEXT) | instid1(VALU_DEP_1)
	v_cndmask_b32_e64 v29, v29, 0, s7
	v_add_nc_u32_e32 v5, v29, v5
	s_delay_alu instid0(VALU_DEP_1) | instskip(NEXT) | instid1(VALU_DEP_1)
	v_mov_b32_dpp v29, v5 row_shr:2 row_mask:0xf bank_mask:0xf
	v_cndmask_b32_e64 v29, 0, v29, s8
	s_delay_alu instid0(VALU_DEP_1) | instskip(NEXT) | instid1(VALU_DEP_1)
	v_add_nc_u32_e32 v5, v5, v29
	v_mov_b32_dpp v29, v5 row_shr:4 row_mask:0xf bank_mask:0xf
	s_delay_alu instid0(VALU_DEP_1) | instskip(NEXT) | instid1(VALU_DEP_1)
	v_cndmask_b32_e64 v29, 0, v29, s9
	v_add_nc_u32_e32 v5, v5, v29
	s_delay_alu instid0(VALU_DEP_1) | instskip(NEXT) | instid1(VALU_DEP_1)
	v_mov_b32_dpp v29, v5 row_shr:8 row_mask:0xf bank_mask:0xf
	v_cndmask_b32_e64 v29, 0, v29, s10
	s_delay_alu instid0(VALU_DEP_1) | instskip(SKIP_3) | instid1(VALU_DEP_1)
	v_add_nc_u32_e32 v5, v5, v29
	ds_swizzle_b32 v29, v5 offset:swizzle(BROADCAST,32,15)
	s_waitcnt lgkmcnt(0)
	v_cndmask_b32_e64 v29, v29, 0, s11
	v_add_nc_u32_e32 v5, v5, v29
	s_and_saveexec_b32 s17, s12
	s_cbranch_execz .LBB16_14
; %bb.13:                               ;   in Loop: Header=BB16_6 Depth=1
	ds_store_b32 v15, v5
.LBB16_14:                              ;   in Loop: Header=BB16_6 Depth=1
	s_or_b32 exec_lo, exec_lo, s17
	s_waitcnt lgkmcnt(0)
	s_barrier
	buffer_gl0_inv
	s_and_saveexec_b32 s17, s4
	s_cbranch_execz .LBB16_16
; %bb.15:                               ;   in Loop: Header=BB16_6 Depth=1
	ds_load_b32 v29, v10
	s_waitcnt lgkmcnt(0)
	v_mov_b32_dpp v30, v29 row_shr:1 row_mask:0xf bank_mask:0xf
	s_delay_alu instid0(VALU_DEP_1) | instskip(NEXT) | instid1(VALU_DEP_1)
	v_cndmask_b32_e64 v30, v30, 0, s13
	v_add_nc_u32_e32 v29, v30, v29
	s_delay_alu instid0(VALU_DEP_1) | instskip(NEXT) | instid1(VALU_DEP_1)
	v_mov_b32_dpp v30, v29 row_shr:2 row_mask:0xf bank_mask:0xf
	v_cndmask_b32_e64 v30, 0, v30, s14
	s_delay_alu instid0(VALU_DEP_1) | instskip(NEXT) | instid1(VALU_DEP_1)
	v_add_nc_u32_e32 v29, v29, v30
	v_mov_b32_dpp v30, v29 row_shr:4 row_mask:0xf bank_mask:0xf
	s_delay_alu instid0(VALU_DEP_1) | instskip(NEXT) | instid1(VALU_DEP_1)
	v_cndmask_b32_e64 v30, 0, v30, s16
	v_add_nc_u32_e32 v29, v29, v30
	ds_store_b32 v10, v29
.LBB16_16:                              ;   in Loop: Header=BB16_6 Depth=1
	s_or_b32 exec_lo, exec_lo, s17
	v_mov_b32_e32 v29, 0
	s_waitcnt lgkmcnt(0)
	s_barrier
	buffer_gl0_inv
	s_and_saveexec_b32 s17, s5
	s_cbranch_execz .LBB16_18
; %bb.17:                               ;   in Loop: Header=BB16_6 Depth=1
	ds_load_b32 v29, v16
.LBB16_18:                              ;   in Loop: Header=BB16_6 Depth=1
	s_or_b32 exec_lo, exec_lo, s17
	s_waitcnt lgkmcnt(0)
	v_add_nc_u32_e32 v5, v29, v5
	s_cmp_gt_u32 s20, 23
	ds_bpermute_b32 v5, v12, v5
	s_waitcnt lgkmcnt(0)
	v_cndmask_b32_e64 v5, v5, v29, s6
	s_delay_alu instid0(VALU_DEP_1) | instskip(NEXT) | instid1(VALU_DEP_1)
	v_cndmask_b32_e64 v5, v5, 0, s0
	v_add_nc_u32_e32 v8, v5, v8
	s_delay_alu instid0(VALU_DEP_1) | instskip(NEXT) | instid1(VALU_DEP_1)
	v_add_nc_u32_e32 v9, v8, v9
	v_add_nc_u32_e32 v6, v9, v6
	s_delay_alu instid0(VALU_DEP_1) | instskip(NEXT) | instid1(VALU_DEP_1)
	v_add_nc_u32_e32 v7, v6, v7
	;; [unrolled: 3-line block ×3, first 2 shown]
	v_add_nc_u32_e32 v4, v3, v4
	ds_store_2addr_b32 v0, v5, v8 offset0:8 offset1:9
	ds_store_2addr_b32 v11, v9, v6 offset0:2 offset1:3
	ds_store_2addr_b32 v11, v7, v2 offset0:4 offset1:5
	ds_store_2addr_b32 v11, v3, v4 offset0:6 offset1:7
	s_waitcnt lgkmcnt(0)
	s_barrier
	buffer_gl0_inv
	ds_load_b32 v2, v22
	ds_load_b32 v3, v25
	;; [unrolled: 1-line block ×3, first 2 shown]
	s_waitcnt lgkmcnt(2)
	v_add_nc_u32_e32 v7, v2, v21
	s_waitcnt lgkmcnt(1)
	v_add3_u32 v6, v24, v23, v3
	s_waitcnt lgkmcnt(0)
	v_add3_u32 v5, v27, v26, v4
	s_cbranch_scc0 .LBB16_5
; %bb.19:
                                        ; implicit-def: $vgpr4
                                        ; implicit-def: $vgpr3
                                        ; implicit-def: $sgpr20
.LBB16_20:
	v_mul_u32_u24_e32 v0, 3, v1
	v_lshlrev_b32_e32 v2, 2, v7
	s_delay_alu instid0(VALU_DEP_3) | instskip(SKIP_1) | instid1(VALU_DEP_4)
	v_lshlrev_b32_e32 v4, 2, v5
	v_lshlrev_b32_e32 v3, 2, v6
	;; [unrolled: 1-line block ×3, first 2 shown]
	s_barrier
	buffer_gl0_inv
	ds_store_b32 v2, v14
	ds_store_b32 v3, v20
	;; [unrolled: 1-line block ×3, first 2 shown]
	s_waitcnt lgkmcnt(0)
	s_barrier
	buffer_gl0_inv
	ds_load_2addr_b32 v[2:3], v5 offset1:1
	ds_load_b32 v4, v5 offset:8
	s_waitcnt lgkmcnt(0)
	s_barrier
	buffer_gl0_inv
	s_and_saveexec_b32 s4, s3
	s_cbranch_execz .LBB16_23
; %bb.21:
	v_lshl_add_u32 v5, v1, 2, 0x800
	v_dual_mov_b32 v6, 0x300 :: v_dual_mov_b32 v7, v1
	s_mov_b32 s5, 0
.LBB16_22:                              ; =>This Inner Loop Header: Depth=1
	s_delay_alu instid0(VALU_DEP_1) | instskip(SKIP_4) | instid1(SALU_CYCLE_1)
	v_add_nc_u32_e32 v7, 0x100, v7
	ds_store_2addr_stride64_b32 v5, v6, v6 offset1:8
	v_add_nc_u32_e32 v5, 0x400, v5
	v_cmp_lt_u32_e32 vcc_lo, 0x1ff, v7
	s_or_b32 s5, vcc_lo, s5
	s_and_not1_b32 exec_lo, exec_lo, s5
	s_cbranch_execnz .LBB16_22
.LBB16_23:
	s_or_b32 exec_lo, exec_lo, s4
	v_lshlrev_b32_e32 v5, 2, v3
	s_mov_b32 s4, exec_lo
	s_waitcnt lgkmcnt(0)
	s_barrier
	buffer_gl0_inv
	ds_store_b32 v10, v4
	v_cmpx_ne_u32_e64 v3, v4
	s_cbranch_execz .LBB16_25
; %bb.24:
	v_add_nc_u32_e32 v6, 2, v0
	v_lshlrev_b32_e32 v4, 2, v4
	ds_store_b32 v4, v6 offset:2048
	ds_store_b32 v5, v6 offset:4096
.LBB16_25:
	s_or_b32 exec_lo, exec_lo, s4
	v_cmp_ne_u32_e32 vcc_lo, v2, v3
	v_lshlrev_b32_e32 v3, 2, v2
	s_and_saveexec_b32 s4, vcc_lo
	s_cbranch_execz .LBB16_27
; %bb.26:
	v_add_nc_u32_e32 v4, 1, v0
	ds_store_b32 v5, v4 offset:2048
	ds_store_b32 v3, v4 offset:4096
.LBB16_27:
	s_or_b32 exec_lo, exec_lo, s4
	s_waitcnt lgkmcnt(0)
	s_barrier
	buffer_gl0_inv
	s_and_saveexec_b32 s4, s1
	s_cbranch_execz .LBB16_30
; %bb.28:
	v_add_nc_u32_e32 v4, -4, v10
	ds_load_b32 v5, v4
	s_waitcnt lgkmcnt(0)
	v_cmp_ne_u32_e32 vcc_lo, v5, v2
	s_and_b32 exec_lo, exec_lo, vcc_lo
	s_cbranch_execz .LBB16_30
; %bb.29:
	ds_store_b32 v3, v0 offset:2048
	ds_load_b32 v2, v4
	s_waitcnt lgkmcnt(0)
	v_lshlrev_b32_e32 v2, 2, v2
	ds_store_b32 v2, v0 offset:4096
.LBB16_30:
	s_or_b32 exec_lo, exec_lo, s4
	s_waitcnt lgkmcnt(0)
	s_barrier
	buffer_gl0_inv
	s_and_saveexec_b32 s1, s0
	s_cbranch_execz .LBB16_32
; %bb.31:
	v_mov_b32_e32 v0, 0
	ds_store_b32 v3, v0 offset:2048
.LBB16_32:
	s_or_b32 exec_lo, exec_lo, s1
	s_waitcnt lgkmcnt(0)
	s_barrier
	buffer_gl0_inv
	s_and_saveexec_b32 s0, s3
	s_cbranch_execz .LBB16_34
; %bb.33:
	ds_load_2addr_stride64_b32 v[2:3], v10 offset0:8 offset1:16
	ds_load_b32 v0, v10 offset:8224
	s_waitcnt lgkmcnt(1)
	v_sub_nc_u32_e32 v2, v3, v2
	s_waitcnt lgkmcnt(0)
	s_delay_alu instid0(VALU_DEP_1)
	v_add_nc_u32_e32 v0, v2, v0
	ds_store_b32 v10, v0 offset:8224
.LBB16_34:
	s_or_b32 exec_lo, exec_lo, s0
	s_and_saveexec_b32 s0, s2
	s_cbranch_execz .LBB16_36
; %bb.35:
	ds_load_2addr_stride64_b32 v[2:3], v10 offset0:12 offset1:20
	ds_load_b32 v0, v10 offset:9248
	s_waitcnt lgkmcnt(1)
	v_sub_nc_u32_e32 v2, v3, v2
	s_waitcnt lgkmcnt(0)
	s_delay_alu instid0(VALU_DEP_1)
	v_add_nc_u32_e32 v0, v2, v0
	ds_store_b32 v10, v0 offset:9248
.LBB16_36:
	s_or_b32 exec_lo, exec_lo, s0
	s_lshl_b32 s0, s15, 9
	s_waitcnt lgkmcnt(0)
	v_mov_b32_e32 v0, s0
	s_barrier
	buffer_gl0_inv
	s_and_saveexec_b32 s1, s3
	s_cbranch_execnz .LBB16_39
; %bb.37:
	s_or_b32 exec_lo, exec_lo, s1
	s_and_saveexec_b32 s0, s2
	s_cbranch_execnz .LBB16_40
.LBB16_38:
	s_nop 0
	s_sendmsg sendmsg(MSG_DEALLOC_VGPRS)
	s_endpgm
.LBB16_39:
	ds_load_b32 v4, v10 offset:8224
	v_or_b32_e32 v2, s0, v1
	s_bitset1_b32 s0, 8
	s_delay_alu instid0(SALU_CYCLE_1) | instskip(NEXT) | instid1(VALU_DEP_1)
	v_dual_mov_b32 v3, 0 :: v_dual_mov_b32 v0, s0
	v_lshlrev_b64 v[2:3], 2, v[2:3]
	s_delay_alu instid0(VALU_DEP_1) | instskip(NEXT) | instid1(VALU_DEP_2)
	v_add_co_u32 v2, vcc_lo, s18, v2
	v_add_co_ci_u32_e32 v3, vcc_lo, s19, v3, vcc_lo
	s_waitcnt lgkmcnt(0)
	global_store_b32 v[2:3], v4, off
	s_or_b32 exec_lo, exec_lo, s1
	s_and_saveexec_b32 s0, s2
	s_cbranch_execz .LBB16_38
.LBB16_40:
	ds_load_b32 v2, v10 offset:9248
	v_dual_mov_b32 v1, 0 :: v_dual_add_nc_u32 v0, v0, v1
	s_delay_alu instid0(VALU_DEP_1) | instskip(NEXT) | instid1(VALU_DEP_1)
	v_lshlrev_b64 v[0:1], 2, v[0:1]
	v_add_co_u32 v0, vcc_lo, s18, v0
	s_delay_alu instid0(VALU_DEP_2)
	v_add_co_ci_u32_e32 v1, vcc_lo, s19, v1, vcc_lo
	s_waitcnt lgkmcnt(0)
	global_store_b32 v[0:1], v2, off
	s_nop 0
	s_sendmsg sendmsg(MSG_DEALLOC_VGPRS)
	s_endpgm
	.section	.rodata,"a",@progbits
	.p2align	6, 0x0
	.amdhsa_kernel _Z16histogram_kernelILj256ELj3ELj512ELN6hipcub23BlockHistogramAlgorithmE1EjEvPT3_S3_
		.amdhsa_group_segment_fixed_size 10272
		.amdhsa_private_segment_fixed_size 0
		.amdhsa_kernarg_size 272
		.amdhsa_user_sgpr_count 15
		.amdhsa_user_sgpr_dispatch_ptr 0
		.amdhsa_user_sgpr_queue_ptr 0
		.amdhsa_user_sgpr_kernarg_segment_ptr 1
		.amdhsa_user_sgpr_dispatch_id 0
		.amdhsa_user_sgpr_private_segment_size 0
		.amdhsa_wavefront_size32 1
		.amdhsa_uses_dynamic_stack 0
		.amdhsa_enable_private_segment 0
		.amdhsa_system_sgpr_workgroup_id_x 1
		.amdhsa_system_sgpr_workgroup_id_y 0
		.amdhsa_system_sgpr_workgroup_id_z 0
		.amdhsa_system_sgpr_workgroup_info 0
		.amdhsa_system_vgpr_workitem_id 2
		.amdhsa_next_free_vgpr 31
		.amdhsa_next_free_sgpr 22
		.amdhsa_reserve_vcc 1
		.amdhsa_float_round_mode_32 0
		.amdhsa_float_round_mode_16_64 0
		.amdhsa_float_denorm_mode_32 3
		.amdhsa_float_denorm_mode_16_64 3
		.amdhsa_dx10_clamp 1
		.amdhsa_ieee_mode 1
		.amdhsa_fp16_overflow 0
		.amdhsa_workgroup_processor_mode 1
		.amdhsa_memory_ordered 1
		.amdhsa_forward_progress 0
		.amdhsa_shared_vgpr_count 0
		.amdhsa_exception_fp_ieee_invalid_op 0
		.amdhsa_exception_fp_denorm_src 0
		.amdhsa_exception_fp_ieee_div_zero 0
		.amdhsa_exception_fp_ieee_overflow 0
		.amdhsa_exception_fp_ieee_underflow 0
		.amdhsa_exception_fp_ieee_inexact 0
		.amdhsa_exception_int_div_zero 0
	.end_amdhsa_kernel
	.section	.text._Z16histogram_kernelILj256ELj3ELj512ELN6hipcub23BlockHistogramAlgorithmE1EjEvPT3_S3_,"axG",@progbits,_Z16histogram_kernelILj256ELj3ELj512ELN6hipcub23BlockHistogramAlgorithmE1EjEvPT3_S3_,comdat
.Lfunc_end16:
	.size	_Z16histogram_kernelILj256ELj3ELj512ELN6hipcub23BlockHistogramAlgorithmE1EjEvPT3_S3_, .Lfunc_end16-_Z16histogram_kernelILj256ELj3ELj512ELN6hipcub23BlockHistogramAlgorithmE1EjEvPT3_S3_
                                        ; -- End function
	.section	.AMDGPU.csdata,"",@progbits
; Kernel info:
; codeLenInByte = 3148
; NumSgprs: 24
; NumVgprs: 31
; ScratchSize: 0
; MemoryBound: 0
; FloatMode: 240
; IeeeMode: 1
; LDSByteSize: 10272 bytes/workgroup (compile time only)
; SGPRBlocks: 2
; VGPRBlocks: 3
; NumSGPRsForWavesPerEU: 24
; NumVGPRsForWavesPerEU: 31
; Occupancy: 16
; WaveLimiterHint : 0
; COMPUTE_PGM_RSRC2:SCRATCH_EN: 0
; COMPUTE_PGM_RSRC2:USER_SGPR: 15
; COMPUTE_PGM_RSRC2:TRAP_HANDLER: 0
; COMPUTE_PGM_RSRC2:TGID_X_EN: 1
; COMPUTE_PGM_RSRC2:TGID_Y_EN: 0
; COMPUTE_PGM_RSRC2:TGID_Z_EN: 0
; COMPUTE_PGM_RSRC2:TIDIG_COMP_CNT: 2
	.section	.text._Z16histogram_kernelILj32ELj2ELj64ELN6hipcub23BlockHistogramAlgorithmE1EjEvPT3_S3_,"axG",@progbits,_Z16histogram_kernelILj32ELj2ELj64ELN6hipcub23BlockHistogramAlgorithmE1EjEvPT3_S3_,comdat
	.protected	_Z16histogram_kernelILj32ELj2ELj64ELN6hipcub23BlockHistogramAlgorithmE1EjEvPT3_S3_ ; -- Begin function _Z16histogram_kernelILj32ELj2ELj64ELN6hipcub23BlockHistogramAlgorithmE1EjEvPT3_S3_
	.globl	_Z16histogram_kernelILj32ELj2ELj64ELN6hipcub23BlockHistogramAlgorithmE1EjEvPT3_S3_
	.p2align	8
	.type	_Z16histogram_kernelILj32ELj2ELj64ELN6hipcub23BlockHistogramAlgorithmE1EjEvPT3_S3_,@function
_Z16histogram_kernelILj32ELj2ELj64ELN6hipcub23BlockHistogramAlgorithmE1EjEvPT3_S3_: ; @_Z16histogram_kernelILj32ELj2ELj64ELN6hipcub23BlockHistogramAlgorithmE1EjEvPT3_S3_
; %bb.0:
	v_dual_mov_b32 v4, 0 :: v_dual_and_b32 v1, 0x3ff, v0
	s_load_b128 s[16:19], s[0:1], 0x0
	s_lshl_b32 s11, s15, 6
	s_delay_alu instid0(VALU_DEP_1) | instskip(SKIP_2) | instid1(VALU_DEP_3)
	v_lshlrev_b32_e32 v11, 1, v1
	v_cmp_gt_u32_e64 s3, 64, v1
	v_lshlrev_b32_e32 v10, 2, v1
	v_or_b32_e32 v3, s11, v11
	s_delay_alu instid0(VALU_DEP_1) | instskip(SKIP_1) | instid1(VALU_DEP_1)
	v_lshlrev_b64 v[2:3], 2, v[3:4]
	s_waitcnt lgkmcnt(0)
	v_add_co_u32 v2, vcc_lo, s16, v2
	s_delay_alu instid0(VALU_DEP_2)
	v_add_co_ci_u32_e32 v3, vcc_lo, s17, v3, vcc_lo
	global_load_b64 v[2:3], v[2:3], off
	s_and_saveexec_b32 s2, s3
	s_cbranch_execz .LBB17_2
; %bb.1:
	ds_store_b32 v10, v4 offset:1040
.LBB17_2:
	s_or_b32 exec_lo, exec_lo, s2
	v_cmp_gt_u32_e64 s2, 32, v1
	s_delay_alu instid0(VALU_DEP_1)
	s_and_saveexec_b32 s4, s2
	s_cbranch_execz .LBB17_4
; %bb.3:
	v_mov_b32_e32 v4, 0
	ds_store_b32 v10, v4 offset:1168
.LBB17_4:
	s_or_b32 exec_lo, exec_lo, s4
	s_waitcnt vmcnt(0) lgkmcnt(0)
	s_waitcnt_vscnt null, 0x0
	; wave barrier
	v_mbcnt_lo_u32_b32 v6, -1, 0
	s_waitcnt vmcnt(0) lgkmcnt(0)
	buffer_gl0_inv
	s_waitcnt vmcnt(0) lgkmcnt(0)
	s_waitcnt_vscnt null, 0x0
	; wave barrier
	buffer_gl0_inv
	s_load_b32 s0, s[0:1], 0x1c
	v_lshlrev_b32_e32 v4, 1, v6
	v_bfe_u32 v5, v0, 10, 10
	v_bfe_u32 v7, v0, 20, 10
	v_dual_mov_b32 v17, 0 :: v_dual_add_nc_u32 v16, -1, v6
	s_delay_alu instid0(VALU_DEP_4)
	v_and_b32_e32 v4, 60, v4
	v_lshlrev_b32_e32 v0, 5, v1
	v_and_b32_e32 v14, 15, v6
	v_cmp_eq_u32_e64 s9, 31, v1
	s_mov_b32 s13, 0
	ds_bpermute_b32 v9, v4, v3
	ds_bpermute_b32 v13, v4, v2 offset:64
	ds_bpermute_b32 v3, v4, v3 offset:64
	ds_bpermute_b32 v8, v4, v2
	v_and_b32_e32 v2, 1, v6
	v_or_b32_e32 v12, 4, v0
	v_cmp_eq_u32_e64 s4, 0, v14
	v_cmp_lt_u32_e64 s5, 1, v14
	v_cmp_lt_u32_e64 s6, 3, v14
	s_waitcnt lgkmcnt(0)
	s_lshr_b32 s1, s0, 16
	s_and_b32 s0, s0, 0xffff
	v_mad_u32_u24 v7, v7, s1, v5
	v_cmp_eq_u32_e32 vcc_lo, 0, v2
	v_and_b32_e32 v15, 16, v6
	v_cmp_lt_u32_e64 s7, 7, v14
	v_cmp_ne_u32_e64 s1, 0, v1
	v_mad_u64_u32 v[4:5], null, v7, s0, v[1:2]
	v_cmp_gt_i32_e64 s0, 0, v16
	v_dual_cndmask_b32 v3, v3, v13 :: v_dual_cndmask_b32 v2, v9, v8
	s_delay_alu instid0(VALU_DEP_2) | instskip(NEXT) | instid1(VALU_DEP_4)
	v_cndmask_b32_e64 v5, v16, v6, s0
	v_lshrrev_b32_e32 v13, 5, v4
	v_and_or_b32 v4, 0x7c0, v11, v6
	v_cmp_eq_u32_e32 vcc_lo, 0, v6
	v_cmp_eq_u32_e64 s0, 0, v1
	v_cmp_eq_u32_e64 s8, 0, v15
	v_lshlrev_b32_e32 v15, 2, v5
	v_lshlrev_b32_e32 v16, 2, v4
	s_delay_alu instid0(VALU_DEP_4)
	s_or_b32 s12, s0, vcc_lo
	s_branch .LBB17_6
.LBB17_5:                               ;   in Loop: Header=BB17_6 Depth=1
	s_delay_alu instid0(VALU_DEP_2) | instskip(NEXT) | instid1(VALU_DEP_2)
	v_lshlrev_b32_e32 v2, 2, v5
	v_lshlrev_b32_e32 v3, 2, v4
	s_waitcnt vmcnt(0) lgkmcnt(0)
	s_waitcnt_vscnt null, 0x0
	; wave barrier
	buffer_gl0_inv
	s_add_i32 s13, s13, 8
	ds_store_b32 v2, v14
	ds_store_b32 v3, v18
	s_waitcnt vmcnt(0) lgkmcnt(0)
	s_waitcnt_vscnt null, 0x0
	; wave barrier
	s_waitcnt lgkmcnt(0)
	buffer_gl0_inv
	ds_load_2addr_b32 v[2:3], v16 offset1:32
	s_waitcnt vmcnt(0) lgkmcnt(0)
	s_waitcnt_vscnt null, 0x0
	; wave barrier
	s_waitcnt lgkmcnt(0)
	buffer_gl0_inv
	s_cbranch_execz .LBB17_14
.LBB17_6:                               ; =>This Inner Loop Header: Depth=1
	v_mov_b32_e32 v14, v2
	ds_store_2addr_b32 v0, v17, v17 offset0:1 offset1:2
	ds_store_2addr_b32 v12, v17, v17 offset0:2 offset1:3
	;; [unrolled: 1-line block ×4, first 2 shown]
	s_waitcnt vmcnt(0) lgkmcnt(0)
	s_waitcnt_vscnt null, 0x0
	; wave barrier
	s_waitcnt lgkmcnt(0)
	buffer_gl0_inv
	v_lshrrev_b32_e32 v4, s13, v14
	; wave barrier
	s_delay_alu instid0(VALU_DEP_1)
	v_lshlrev_b32_e32 v7, 29, v4
	v_bfe_u32 v2, v14, s13, 1
	v_lshlrev_b32_e32 v6, 30, v4
	v_lshlrev_b32_e32 v8, 28, v4
	;; [unrolled: 1-line block ×4, first 2 shown]
	v_add_co_u32 v2, s10, v2, -1
	s_delay_alu instid0(VALU_DEP_1) | instskip(SKIP_3) | instid1(VALU_DEP_4)
	v_cndmask_b32_e64 v5, 0, 1, s10
	v_cmp_gt_i32_e64 s10, 0, v6
	v_lshlrev_b32_e32 v19, 25, v4
	v_lshlrev_b32_e32 v4, 24, v4
	v_cmp_ne_u32_e32 vcc_lo, 0, v5
	v_not_b32_e32 v5, v6
	v_not_b32_e32 v6, v7
	v_xor_b32_e32 v2, vcc_lo, v2
	s_delay_alu instid0(VALU_DEP_3)
	v_ashrrev_i32_e32 v5, 31, v5
	v_cmp_gt_i32_e32 vcc_lo, 0, v7
	v_not_b32_e32 v7, v8
	v_ashrrev_i32_e32 v6, 31, v6
	v_and_b32_e32 v2, exec_lo, v2
	v_xor_b32_e32 v5, s10, v5
	v_cmp_gt_i32_e64 s10, 0, v8
	v_ashrrev_i32_e32 v7, 31, v7
	v_xor_b32_e32 v6, vcc_lo, v6
	s_delay_alu instid0(VALU_DEP_4) | instskip(SKIP_1) | instid1(VALU_DEP_4)
	v_and_b32_e32 v2, v2, v5
	v_not_b32_e32 v5, v18
	v_xor_b32_e32 v7, s10, v7
	v_cmp_gt_i32_e64 s10, 0, v18
	v_mov_b32_e32 v18, v3
	v_not_b32_e32 v8, v9
	v_cmp_gt_i32_e32 vcc_lo, 0, v9
	v_and_b32_e32 v2, v2, v6
	v_not_b32_e32 v6, v19
	v_ashrrev_i32_e32 v5, 31, v5
	v_ashrrev_i32_e32 v8, 31, v8
	s_delay_alu instid0(VALU_DEP_4) | instskip(SKIP_2) | instid1(VALU_DEP_4)
	v_and_b32_e32 v2, v2, v7
	v_not_b32_e32 v7, v4
	v_ashrrev_i32_e32 v6, 31, v6
	v_xor_b32_e32 v8, vcc_lo, v8
	v_cmp_gt_i32_e32 vcc_lo, 0, v19
	v_xor_b32_e32 v5, s10, v5
	v_cmp_gt_i32_e64 s10, 0, v4
	v_ashrrev_i32_e32 v4, 31, v7
	v_and_b32_e32 v2, v2, v8
	v_xor_b32_e32 v6, vcc_lo, v6
	s_delay_alu instid0(VALU_DEP_3) | instskip(NEXT) | instid1(VALU_DEP_3)
	v_xor_b32_e32 v4, s10, v4
	v_and_b32_e32 v2, v2, v5
	v_bfe_u32 v5, v14, s13, 8
	s_delay_alu instid0(VALU_DEP_2) | instskip(NEXT) | instid1(VALU_DEP_2)
	v_and_b32_e32 v2, v2, v6
	v_add_nc_u32_e32 v3, v5, v13
	s_delay_alu instid0(VALU_DEP_2) | instskip(NEXT) | instid1(VALU_DEP_2)
	v_and_b32_e32 v2, v2, v4
	v_lshl_add_u32 v20, v3, 2, 4
	s_delay_alu instid0(VALU_DEP_2) | instskip(SKIP_1) | instid1(VALU_DEP_2)
	v_mbcnt_lo_u32_b32 v19, v2, 0
	v_cmp_ne_u32_e64 s10, 0, v2
	v_cmp_eq_u32_e32 vcc_lo, 0, v19
	s_delay_alu instid0(VALU_DEP_2) | instskip(NEXT) | instid1(SALU_CYCLE_1)
	s_and_b32 s14, s10, vcc_lo
	s_and_saveexec_b32 s10, s14
	s_cbranch_execz .LBB17_8
; %bb.7:                                ;   in Loop: Header=BB17_6 Depth=1
	v_bcnt_u32_b32 v2, v2, 0
	ds_store_b32 v20, v2
.LBB17_8:                               ;   in Loop: Header=BB17_6 Depth=1
	s_or_b32 exec_lo, exec_lo, s10
	v_bfe_u32 v2, v18, s13, 1
	v_lshrrev_b32_e32 v3, s13, v18
	; wave barrier
	s_delay_alu instid0(VALU_DEP_2) | instskip(NEXT) | instid1(VALU_DEP_1)
	v_add_co_u32 v2, s10, v2, -1
	v_cndmask_b32_e64 v4, 0, 1, s10
	s_delay_alu instid0(VALU_DEP_3)
	v_lshlrev_b32_e32 v5, 30, v3
	v_lshlrev_b32_e32 v6, 29, v3
	v_lshlrev_b32_e32 v7, 28, v3
	v_lshlrev_b32_e32 v8, 27, v3
	v_cmp_ne_u32_e32 vcc_lo, 0, v4
	v_not_b32_e32 v4, v5
	v_cmp_gt_i32_e64 s10, 0, v5
	v_not_b32_e32 v5, v6
	v_lshlrev_b32_e32 v9, 26, v3
	v_xor_b32_e32 v2, vcc_lo, v2
	v_ashrrev_i32_e32 v4, 31, v4
	v_cmp_gt_i32_e32 vcc_lo, 0, v6
	v_not_b32_e32 v6, v7
	v_ashrrev_i32_e32 v5, 31, v5
	v_and_b32_e32 v2, exec_lo, v2
	v_xor_b32_e32 v4, s10, v4
	v_cmp_gt_i32_e64 s10, 0, v7
	v_not_b32_e32 v7, v8
	v_ashrrev_i32_e32 v6, 31, v6
	v_xor_b32_e32 v5, vcc_lo, v5
	v_and_b32_e32 v2, v2, v4
	v_lshlrev_b32_e32 v4, 25, v3
	v_cmp_gt_i32_e32 vcc_lo, 0, v8
	v_ashrrev_i32_e32 v7, 31, v7
	v_xor_b32_e32 v6, s10, v6
	v_and_b32_e32 v2, v2, v5
	v_not_b32_e32 v5, v9
	v_lshlrev_b32_e32 v3, 24, v3
	v_not_b32_e32 v8, v4
	v_xor_b32_e32 v7, vcc_lo, v7
	v_and_b32_e32 v2, v2, v6
	v_cmp_gt_i32_e32 vcc_lo, 0, v9
	v_ashrrev_i32_e32 v5, 31, v5
	v_cmp_gt_i32_e64 s10, 0, v4
	v_ashrrev_i32_e32 v4, 31, v8
	v_and_b32_e32 v2, v2, v7
	v_not_b32_e32 v6, v3
	v_xor_b32_e32 v5, vcc_lo, v5
	v_bfe_u32 v7, v18, s13, 8
	v_xor_b32_e32 v4, s10, v4
	v_cmp_gt_i32_e32 vcc_lo, 0, v3
	v_ashrrev_i32_e32 v3, 31, v6
	v_and_b32_e32 v2, v2, v5
	v_add_lshl_u32 v5, v7, v13, 2
	s_delay_alu instid0(VALU_DEP_3) | instskip(NEXT) | instid1(VALU_DEP_3)
	v_xor_b32_e32 v3, vcc_lo, v3
	v_and_b32_e32 v2, v2, v4
	ds_load_b32 v21, v5 offset:4
	v_add_nc_u32_e32 v23, 4, v5
	; wave barrier
	v_and_b32_e32 v2, v2, v3
	s_delay_alu instid0(VALU_DEP_1) | instskip(SKIP_1) | instid1(VALU_DEP_2)
	v_mbcnt_lo_u32_b32 v22, v2, 0
	v_cmp_ne_u32_e64 s10, 0, v2
	v_cmp_eq_u32_e32 vcc_lo, 0, v22
	s_delay_alu instid0(VALU_DEP_2) | instskip(NEXT) | instid1(SALU_CYCLE_1)
	s_and_b32 s14, s10, vcc_lo
	s_and_saveexec_b32 s10, s14
	s_cbranch_execz .LBB17_10
; %bb.9:                                ;   in Loop: Header=BB17_6 Depth=1
	s_waitcnt lgkmcnt(0)
	v_bcnt_u32_b32 v2, v2, v21
	ds_store_b32 v23, v2
.LBB17_10:                              ;   in Loop: Header=BB17_6 Depth=1
	s_or_b32 exec_lo, exec_lo, s10
	; wave barrier
	s_waitcnt vmcnt(0) lgkmcnt(0)
	s_waitcnt_vscnt null, 0x0
	; wave barrier
	s_waitcnt lgkmcnt(0)
	buffer_gl0_inv
	ds_load_2addr_b32 v[8:9], v0 offset0:1 offset1:2
	ds_load_2addr_b32 v[6:7], v12 offset0:2 offset1:3
	;; [unrolled: 1-line block ×4, first 2 shown]
	s_waitcnt lgkmcnt(3)
	v_add_nc_u32_e32 v24, v9, v8
	s_waitcnt lgkmcnt(2)
	s_delay_alu instid0(VALU_DEP_1) | instskip(SKIP_1) | instid1(VALU_DEP_1)
	v_add3_u32 v24, v24, v6, v7
	s_waitcnt lgkmcnt(1)
	v_add3_u32 v24, v24, v4, v5
	s_waitcnt lgkmcnt(0)
	s_delay_alu instid0(VALU_DEP_1) | instskip(NEXT) | instid1(VALU_DEP_1)
	v_add3_u32 v3, v24, v2, v3
	v_mov_b32_dpp v24, v3 row_shr:1 row_mask:0xf bank_mask:0xf
	s_delay_alu instid0(VALU_DEP_1) | instskip(NEXT) | instid1(VALU_DEP_1)
	v_cndmask_b32_e64 v24, v24, 0, s4
	v_add_nc_u32_e32 v3, v24, v3
	s_delay_alu instid0(VALU_DEP_1) | instskip(NEXT) | instid1(VALU_DEP_1)
	v_mov_b32_dpp v24, v3 row_shr:2 row_mask:0xf bank_mask:0xf
	v_cndmask_b32_e64 v24, 0, v24, s5
	s_delay_alu instid0(VALU_DEP_1) | instskip(NEXT) | instid1(VALU_DEP_1)
	v_add_nc_u32_e32 v3, v3, v24
	v_mov_b32_dpp v24, v3 row_shr:4 row_mask:0xf bank_mask:0xf
	s_delay_alu instid0(VALU_DEP_1) | instskip(NEXT) | instid1(VALU_DEP_1)
	v_cndmask_b32_e64 v24, 0, v24, s6
	v_add_nc_u32_e32 v3, v3, v24
	s_delay_alu instid0(VALU_DEP_1) | instskip(NEXT) | instid1(VALU_DEP_1)
	v_mov_b32_dpp v24, v3 row_shr:8 row_mask:0xf bank_mask:0xf
	v_cndmask_b32_e64 v24, 0, v24, s7
	s_delay_alu instid0(VALU_DEP_1) | instskip(SKIP_3) | instid1(VALU_DEP_1)
	v_add_nc_u32_e32 v3, v3, v24
	ds_swizzle_b32 v24, v3 offset:swizzle(BROADCAST,32,15)
	s_waitcnt lgkmcnt(0)
	v_cndmask_b32_e64 v24, v24, 0, s8
	v_add_nc_u32_e32 v3, v3, v24
	s_and_saveexec_b32 s10, s9
	s_cbranch_execz .LBB17_12
; %bb.11:                               ;   in Loop: Header=BB17_6 Depth=1
	ds_store_b32 v17, v3
.LBB17_12:                              ;   in Loop: Header=BB17_6 Depth=1
	s_or_b32 exec_lo, exec_lo, s10
	ds_bpermute_b32 v3, v15, v3
	s_waitcnt vmcnt(0) lgkmcnt(0)
	s_waitcnt_vscnt null, 0x0
	; wave barrier
	s_waitcnt lgkmcnt(0)
	buffer_gl0_inv
	s_cmp_gt_u32 s13, 23
	v_cndmask_b32_e64 v3, v3, 0, s12
	s_delay_alu instid0(VALU_DEP_1) | instskip(NEXT) | instid1(VALU_DEP_1)
	v_add_nc_u32_e32 v8, v3, v8
	v_add_nc_u32_e32 v9, v8, v9
	s_delay_alu instid0(VALU_DEP_1) | instskip(NEXT) | instid1(VALU_DEP_1)
	v_add_nc_u32_e32 v6, v9, v6
	v_add_nc_u32_e32 v7, v6, v7
	s_delay_alu instid0(VALU_DEP_1) | instskip(NEXT) | instid1(VALU_DEP_1)
	v_add_nc_u32_e32 v4, v7, v4
	v_add_nc_u32_e32 v5, v4, v5
	s_delay_alu instid0(VALU_DEP_1)
	v_add_nc_u32_e32 v2, v5, v2
	ds_store_2addr_b32 v0, v3, v8 offset0:1 offset1:2
	ds_store_2addr_b32 v12, v9, v6 offset0:2 offset1:3
	;; [unrolled: 1-line block ×4, first 2 shown]
	s_waitcnt vmcnt(0) lgkmcnt(0)
	s_waitcnt_vscnt null, 0x0
	; wave barrier
	s_waitcnt lgkmcnt(0)
	buffer_gl0_inv
	ds_load_b32 v2, v20
	ds_load_b32 v3, v23
	s_waitcnt lgkmcnt(1)
	v_add_nc_u32_e32 v5, v2, v19
	s_waitcnt lgkmcnt(0)
	v_add3_u32 v4, v22, v21, v3
	s_cbranch_scc0 .LBB17_5
; %bb.13:
                                        ; implicit-def: $vgpr3
                                        ; implicit-def: $sgpr13
.LBB17_14:
	s_delay_alu instid0(VALU_DEP_2) | instskip(SKIP_1) | instid1(VALU_DEP_3)
	v_lshlrev_b32_e32 v0, 2, v5
	v_lshlrev_b32_e32 v3, 2, v11
	;; [unrolled: 1-line block ×3, first 2 shown]
	s_waitcnt vmcnt(0) lgkmcnt(0)
	s_waitcnt_vscnt null, 0x0
	; wave barrier
	buffer_gl0_inv
	ds_store_b32 v0, v14
	ds_store_b32 v2, v18
	s_waitcnt vmcnt(0) lgkmcnt(0)
	s_waitcnt_vscnt null, 0x0
	; wave barrier
	s_waitcnt lgkmcnt(0)
	buffer_gl0_inv
	ds_load_2addr_b32 v[2:3], v3 offset1:1
	s_waitcnt vmcnt(0) lgkmcnt(0)
	s_waitcnt_vscnt null, 0x0
	; wave barrier
	s_waitcnt lgkmcnt(0)
	buffer_gl0_inv
	s_and_saveexec_b32 s4, s3
	s_cbranch_execz .LBB17_17
; %bb.15:
	v_lshl_add_u32 v0, v1, 2, 0x100
	v_dual_mov_b32 v4, 64 :: v_dual_mov_b32 v5, v1
	s_mov_b32 s5, 0
.LBB17_16:                              ; =>This Inner Loop Header: Depth=1
	s_delay_alu instid0(VALU_DEP_1) | instskip(SKIP_4) | instid1(SALU_CYCLE_1)
	v_add_nc_u32_e32 v5, 32, v5
	ds_store_2addr_stride64_b32 v0, v4, v4 offset1:1
	v_add_nc_u32_e32 v0, 0x80, v0
	v_cmp_lt_u32_e32 vcc_lo, 63, v5
	s_or_b32 s5, vcc_lo, s5
	s_and_not1_b32 exec_lo, exec_lo, s5
	s_cbranch_execnz .LBB17_16
.LBB17_17:
	s_or_b32 exec_lo, exec_lo, s4
	v_lshlrev_b32_e32 v0, 2, v2
	s_mov_b32 s4, exec_lo
	s_waitcnt vmcnt(0) lgkmcnt(0)
	s_waitcnt_vscnt null, 0x0
	; wave barrier
	s_waitcnt lgkmcnt(0)
	buffer_gl0_inv
	ds_store_b32 v10, v3
	v_cmpx_ne_u32_e64 v2, v3
	s_cbranch_execz .LBB17_19
; %bb.18:
	v_or_b32_e32 v4, 1, v11
	v_lshlrev_b32_e32 v3, 2, v3
	ds_store_b32 v3, v4 offset:256
	ds_store_b32 v0, v4 offset:512
.LBB17_19:
	s_or_b32 exec_lo, exec_lo, s4
	s_waitcnt vmcnt(0) lgkmcnt(0)
	s_waitcnt_vscnt null, 0x0
	; wave barrier
	s_waitcnt lgkmcnt(0)
	buffer_gl0_inv
	s_and_saveexec_b32 s4, s1
	s_cbranch_execz .LBB17_22
; %bb.20:
	v_add_nc_u32_e32 v3, -4, v10
	ds_load_b32 v4, v3
	s_waitcnt lgkmcnt(0)
	v_cmp_ne_u32_e32 vcc_lo, v4, v2
	s_and_b32 exec_lo, exec_lo, vcc_lo
	s_cbranch_execz .LBB17_22
; %bb.21:
	ds_store_b32 v0, v11 offset:256
	ds_load_b32 v2, v3
	s_waitcnt lgkmcnt(0)
	v_lshlrev_b32_e32 v2, 2, v2
	ds_store_b32 v2, v11 offset:512
.LBB17_22:
	s_or_b32 exec_lo, exec_lo, s4
	s_waitcnt vmcnt(0) lgkmcnt(0)
	s_waitcnt_vscnt null, 0x0
	; wave barrier
	s_waitcnt lgkmcnt(0)
	buffer_gl0_inv
	s_and_saveexec_b32 s1, s0
	s_cbranch_execz .LBB17_24
; %bb.23:
	v_mov_b32_e32 v2, 0
	ds_store_b32 v0, v2 offset:256
.LBB17_24:
	s_or_b32 exec_lo, exec_lo, s1
	s_waitcnt vmcnt(0) lgkmcnt(0)
	s_waitcnt_vscnt null, 0x0
	; wave barrier
	s_waitcnt lgkmcnt(0)
	buffer_gl0_inv
	s_and_saveexec_b32 s0, s3
	s_cbranch_execz .LBB17_26
; %bb.25:
	ds_load_2addr_stride64_b32 v[2:3], v10 offset0:1 offset1:2
	ds_load_b32 v0, v10 offset:1040
	s_waitcnt lgkmcnt(1)
	v_sub_nc_u32_e32 v2, v3, v2
	s_waitcnt lgkmcnt(0)
	s_delay_alu instid0(VALU_DEP_1)
	v_add_nc_u32_e32 v0, v2, v0
	ds_store_b32 v10, v0 offset:1040
.LBB17_26:
	s_or_b32 exec_lo, exec_lo, s0
	s_and_saveexec_b32 s0, s2
	s_cbranch_execz .LBB17_28
; %bb.27:
	ds_load_2addr_b32 v[2:3], v10 offset0:96 offset1:160
	ds_load_b32 v0, v10 offset:1168
	s_waitcnt lgkmcnt(1)
	v_sub_nc_u32_e32 v2, v3, v2
	s_waitcnt lgkmcnt(0)
	s_delay_alu instid0(VALU_DEP_1)
	v_add_nc_u32_e32 v0, v2, v0
	ds_store_b32 v10, v0 offset:1168
.LBB17_28:
	s_or_b32 exec_lo, exec_lo, s0
	v_mov_b32_e32 v0, s11
	s_waitcnt vmcnt(0) lgkmcnt(0)
	s_waitcnt_vscnt null, 0x0
	; wave barrier
	s_waitcnt lgkmcnt(0)
	buffer_gl0_inv
	s_and_saveexec_b32 s0, s3
	s_cbranch_execnz .LBB17_31
; %bb.29:
	s_or_b32 exec_lo, exec_lo, s0
	s_and_saveexec_b32 s0, s2
	s_cbranch_execnz .LBB17_32
.LBB17_30:
	s_nop 0
	s_sendmsg sendmsg(MSG_DEALLOC_VGPRS)
	s_endpgm
.LBB17_31:
	ds_load_b32 v4, v10 offset:1040
	v_or_b32_e32 v2, s11, v1
	s_or_b32 s1, s11, 32
	s_delay_alu instid0(SALU_CYCLE_1) | instskip(NEXT) | instid1(VALU_DEP_1)
	v_dual_mov_b32 v3, 0 :: v_dual_mov_b32 v0, s1
	v_lshlrev_b64 v[2:3], 2, v[2:3]
	s_delay_alu instid0(VALU_DEP_1) | instskip(NEXT) | instid1(VALU_DEP_2)
	v_add_co_u32 v2, vcc_lo, s18, v2
	v_add_co_ci_u32_e32 v3, vcc_lo, s19, v3, vcc_lo
	s_waitcnt lgkmcnt(0)
	global_store_b32 v[2:3], v4, off
	s_or_b32 exec_lo, exec_lo, s0
	s_and_saveexec_b32 s0, s2
	s_cbranch_execz .LBB17_30
.LBB17_32:
	ds_load_b32 v2, v10 offset:1168
	v_dual_mov_b32 v1, 0 :: v_dual_add_nc_u32 v0, v0, v1
	s_delay_alu instid0(VALU_DEP_1) | instskip(NEXT) | instid1(VALU_DEP_1)
	v_lshlrev_b64 v[0:1], 2, v[0:1]
	v_add_co_u32 v0, vcc_lo, s18, v0
	s_delay_alu instid0(VALU_DEP_2)
	v_add_co_ci_u32_e32 v1, vcc_lo, s19, v1, vcc_lo
	s_waitcnt lgkmcnt(0)
	global_store_b32 v[0:1], v2, off
	s_nop 0
	s_sendmsg sendmsg(MSG_DEALLOC_VGPRS)
	s_endpgm
	.section	.rodata,"a",@progbits
	.p2align	6, 0x0
	.amdhsa_kernel _Z16histogram_kernelILj32ELj2ELj64ELN6hipcub23BlockHistogramAlgorithmE1EjEvPT3_S3_
		.amdhsa_group_segment_fixed_size 1296
		.amdhsa_private_segment_fixed_size 0
		.amdhsa_kernarg_size 272
		.amdhsa_user_sgpr_count 15
		.amdhsa_user_sgpr_dispatch_ptr 0
		.amdhsa_user_sgpr_queue_ptr 0
		.amdhsa_user_sgpr_kernarg_segment_ptr 1
		.amdhsa_user_sgpr_dispatch_id 0
		.amdhsa_user_sgpr_private_segment_size 0
		.amdhsa_wavefront_size32 1
		.amdhsa_uses_dynamic_stack 0
		.amdhsa_enable_private_segment 0
		.amdhsa_system_sgpr_workgroup_id_x 1
		.amdhsa_system_sgpr_workgroup_id_y 0
		.amdhsa_system_sgpr_workgroup_id_z 0
		.amdhsa_system_sgpr_workgroup_info 0
		.amdhsa_system_vgpr_workitem_id 2
		.amdhsa_next_free_vgpr 25
		.amdhsa_next_free_sgpr 20
		.amdhsa_reserve_vcc 1
		.amdhsa_float_round_mode_32 0
		.amdhsa_float_round_mode_16_64 0
		.amdhsa_float_denorm_mode_32 3
		.amdhsa_float_denorm_mode_16_64 3
		.amdhsa_dx10_clamp 1
		.amdhsa_ieee_mode 1
		.amdhsa_fp16_overflow 0
		.amdhsa_workgroup_processor_mode 1
		.amdhsa_memory_ordered 1
		.amdhsa_forward_progress 0
		.amdhsa_shared_vgpr_count 0
		.amdhsa_exception_fp_ieee_invalid_op 0
		.amdhsa_exception_fp_denorm_src 0
		.amdhsa_exception_fp_ieee_div_zero 0
		.amdhsa_exception_fp_ieee_overflow 0
		.amdhsa_exception_fp_ieee_underflow 0
		.amdhsa_exception_fp_ieee_inexact 0
		.amdhsa_exception_int_div_zero 0
	.end_amdhsa_kernel
	.section	.text._Z16histogram_kernelILj32ELj2ELj64ELN6hipcub23BlockHistogramAlgorithmE1EjEvPT3_S3_,"axG",@progbits,_Z16histogram_kernelILj32ELj2ELj64ELN6hipcub23BlockHistogramAlgorithmE1EjEvPT3_S3_,comdat
.Lfunc_end17:
	.size	_Z16histogram_kernelILj32ELj2ELj64ELN6hipcub23BlockHistogramAlgorithmE1EjEvPT3_S3_, .Lfunc_end17-_Z16histogram_kernelILj32ELj2ELj64ELN6hipcub23BlockHistogramAlgorithmE1EjEvPT3_S3_
                                        ; -- End function
	.section	.AMDGPU.csdata,"",@progbits
; Kernel info:
; codeLenInByte = 2420
; NumSgprs: 22
; NumVgprs: 25
; ScratchSize: 0
; MemoryBound: 0
; FloatMode: 240
; IeeeMode: 1
; LDSByteSize: 1296 bytes/workgroup (compile time only)
; SGPRBlocks: 2
; VGPRBlocks: 3
; NumSGPRsForWavesPerEU: 22
; NumVGPRsForWavesPerEU: 25
; Occupancy: 16
; WaveLimiterHint : 0
; COMPUTE_PGM_RSRC2:SCRATCH_EN: 0
; COMPUTE_PGM_RSRC2:USER_SGPR: 15
; COMPUTE_PGM_RSRC2:TRAP_HANDLER: 0
; COMPUTE_PGM_RSRC2:TGID_X_EN: 1
; COMPUTE_PGM_RSRC2:TGID_Y_EN: 0
; COMPUTE_PGM_RSRC2:TGID_Z_EN: 0
; COMPUTE_PGM_RSRC2:TIDIG_COMP_CNT: 2
	.section	.text._Z16histogram_kernelILj6ELj32ELj18ELN6hipcub23BlockHistogramAlgorithmE1EjEvPT3_S3_,"axG",@progbits,_Z16histogram_kernelILj6ELj32ELj18ELN6hipcub23BlockHistogramAlgorithmE1EjEvPT3_S3_,comdat
	.protected	_Z16histogram_kernelILj6ELj32ELj18ELN6hipcub23BlockHistogramAlgorithmE1EjEvPT3_S3_ ; -- Begin function _Z16histogram_kernelILj6ELj32ELj18ELN6hipcub23BlockHistogramAlgorithmE1EjEvPT3_S3_
	.globl	_Z16histogram_kernelILj6ELj32ELj18ELN6hipcub23BlockHistogramAlgorithmE1EjEvPT3_S3_
	.p2align	8
	.type	_Z16histogram_kernelILj6ELj32ELj18ELN6hipcub23BlockHistogramAlgorithmE1EjEvPT3_S3_,@function
_Z16histogram_kernelILj6ELj32ELj18ELN6hipcub23BlockHistogramAlgorithmE1EjEvPT3_S3_: ; @_Z16histogram_kernelILj6ELj32ELj18ELN6hipcub23BlockHistogramAlgorithmE1EjEvPT3_S3_
; %bb.0:
	s_load_b128 s[8:11], s[0:1], 0x0
	s_mul_i32 s0, s15, 6
	v_dual_mov_b32 v33, 0 :: v_dual_lshlrev_b32 v34, 2, v0
	v_add_lshl_u32 v32, s0, v0, 5
	v_cmp_gt_u32_e64 s2, 18, v0
	s_delay_alu instid0(VALU_DEP_2) | instskip(SKIP_1) | instid1(VALU_DEP_1)
	v_lshlrev_b64 v[1:2], 2, v[32:33]
	s_waitcnt lgkmcnt(0)
	v_add_co_u32 v17, vcc_lo, s8, v1
	s_delay_alu instid0(VALU_DEP_2)
	v_add_co_ci_u32_e32 v18, vcc_lo, s9, v2, vcc_lo
	s_clause 0x7
	global_load_b128 v[13:16], v[17:18], off offset:48
	global_load_b128 v[9:12], v[17:18], off offset:32
	;; [unrolled: 1-line block ×3, first 2 shown]
	global_load_b128 v[1:4], v[17:18], off
	global_load_b128 v[29:32], v[17:18], off offset:112
	global_load_b128 v[25:28], v[17:18], off offset:96
	;; [unrolled: 1-line block ×4, first 2 shown]
	s_and_saveexec_b32 s0, s2
	s_cbranch_execnz .LBB18_91
; %bb.1:
	s_or_b32 exec_lo, exec_lo, s0
	v_cmp_gt_u32_e64 s1, 12, v0
	s_delay_alu instid0(VALU_DEP_1)
	s_and_saveexec_b32 s0, s1
	s_cbranch_execnz .LBB18_92
.LBB18_2:
	s_or_b32 exec_lo, exec_lo, s0
	v_cmp_gt_u32_e64 s0, 6, v0
	s_delay_alu instid0(VALU_DEP_1)
	s_and_saveexec_b32 s3, s0
	s_cbranch_execz .LBB18_4
.LBB18_3:
	v_lshlrev_b32_e32 v33, 2, v0
	v_mov_b32_e32 v35, 0
	ds_store_b32 v33, v35 offset:816
.LBB18_4:
	s_or_b32 exec_lo, exec_lo, s3
	v_mbcnt_lo_u32_b32 v36, -1, 0
	v_cmp_gt_u32_e64 s3, 48, v0
	v_lshlrev_b32_e32 v33, 5, v0
	v_cmp_eq_u32_e64 s4, 5, v0
	v_lshlrev_b32_e32 v35, 7, v0
	v_add_nc_u32_e32 v37, -1, v36
	v_dual_mov_b32 v53, 0 :: v_dual_and_b32 v38, 24, v36
	v_and_b32_e32 v39, 7, v36
	v_add_nc_u32_e32 v46, -6, v0
	v_cmp_eq_u32_e64 s5, 0, v36
	s_delay_alu instid0(VALU_DEP_4)
	v_cmp_lt_i32_e32 vcc_lo, v37, v38
	s_mov_b32 s9, 0
	v_cmp_eq_u32_e64 s6, 0, v39
	v_cmp_lt_u32_e64 s7, 1, v39
	v_cmp_lt_u32_e64 s8, 3, v39
	v_cndmask_b32_e32 v37, v37, v36, vcc_lo
	s_waitcnt vmcnt(0) lgkmcnt(0)
	s_waitcnt_vscnt null, 0x0
	; wave barrier
	s_waitcnt vmcnt(0) lgkmcnt(0)
	buffer_gl0_inv
	v_lshlrev_b32_e32 v52, 2, v37
	s_branch .LBB18_6
.LBB18_5:                               ;   in Loop: Header=BB18_6 Depth=1
	v_lshlrev_b32_e32 v1, 2, v97
	v_lshlrev_b32_e32 v2, 2, v95
	s_waitcnt vmcnt(0) lgkmcnt(0)
	s_waitcnt_vscnt null, 0x0
	; wave barrier
	buffer_gl0_inv
	v_lshlrev_b32_e32 v3, 2, v88
	ds_store_b32 v1, v70
	ds_store_b32 v2, v69
	v_lshlrev_b32_e32 v1, 2, v90
	v_lshlrev_b32_e32 v2, 2, v89
	v_lshlrev_b32_e32 v4, 2, v87
	v_lshlrev_b32_e32 v5, 2, v85
	ds_store_b32 v1, v68
	ds_store_b32 v2, v67
	ds_store_b32 v3, v66
	ds_store_b32 v4, v65
	ds_store_b32 v5, v64
	v_lshlrev_b32_e32 v1, 2, v80
	v_lshlrev_b32_e32 v2, 2, v79
	v_lshlrev_b32_e32 v3, 2, v78
	v_lshlrev_b32_e32 v4, 2, v77
	v_lshlrev_b32_e32 v5, 2, v75
	ds_store_b32 v1, v63
	ds_store_b32 v2, v62
	ds_store_b32 v3, v61
	ds_store_b32 v4, v60
	ds_store_b32 v5, v59
	v_lshlrev_b32_e32 v1, 2, v102
	;; [unrolled: 10-line block ×5, first 2 shown]
	v_lshlrev_b32_e32 v2, 2, v74
	v_lshlrev_b32_e32 v3, 2, v73
	;; [unrolled: 1-line block ×4, first 2 shown]
	ds_store_b32 v1, v40
	ds_store_b32 v2, v39
	;; [unrolled: 1-line block ×5, first 2 shown]
	s_waitcnt vmcnt(0) lgkmcnt(0)
	s_waitcnt_vscnt null, 0x0
	; wave barrier
	s_waitcnt lgkmcnt(0)
	buffer_gl0_inv
	ds_load_2addr_b32 v[1:2], v35 offset1:1
	ds_load_2addr_b32 v[3:4], v35 offset0:2 offset1:3
	ds_load_2addr_b32 v[5:6], v35 offset0:4 offset1:5
	;; [unrolled: 1-line block ×15, first 2 shown]
	s_add_i32 s9, s9, 4
	s_waitcnt vmcnt(0) lgkmcnt(0)
	s_waitcnt_vscnt null, 0x0
	; wave barrier
	s_waitcnt lgkmcnt(0)
	buffer_gl0_inv
	s_cbranch_execz .LBB18_13
.LBB18_6:                               ; =>This Loop Header: Depth=1
                                        ;     Child Loop BB18_8 Depth 2
	v_dual_mov_b32 v70, v1 :: v_dual_mov_b32 v69, v2
	v_dual_mov_b32 v68, v3 :: v_dual_mov_b32 v67, v4
	;; [unrolled: 1-line block ×16, first 2 shown]
	s_and_saveexec_b32 s12, s3
	s_cbranch_execz .LBB18_9
; %bb.7:                                ;   in Loop: Header=BB18_6 Depth=1
	v_mov_b32_e32 v1, v46
	v_mov_b32_e32 v2, v34
	s_mov_b32 s13, 0
.LBB18_8:                               ;   Parent Loop BB18_6 Depth=1
                                        ; =>  This Inner Loop Header: Depth=2
	s_delay_alu instid0(VALU_DEP_2) | instskip(SKIP_4) | instid1(SALU_CYCLE_1)
	v_add_nc_u32_e32 v1, 6, v1
	ds_store_b32 v2, v53
	v_add_nc_u32_e32 v2, 24, v2
	v_cmp_lt_u32_e32 vcc_lo, 41, v1
	s_or_b32 s13, vcc_lo, s13
	s_and_not1_b32 exec_lo, exec_lo, s13
	s_cbranch_execnz .LBB18_8
.LBB18_9:                               ;   in Loop: Header=BB18_6 Depth=1
	s_or_b32 exec_lo, exec_lo, s12
	v_lshrrev_b32_e32 v1, s9, v70
	v_bfe_u32 v2, v70, s9, 3
	s_delay_alu instid0(VALU_DEP_2) | instskip(NEXT) | instid1(VALU_DEP_2)
	v_lshrrev_b32_e32 v1, 2, v1
	v_mad_u32_u24 v2, v2, 6, v0
	s_delay_alu instid0(VALU_DEP_2) | instskip(NEXT) | instid1(VALU_DEP_1)
	v_and_b32_e32 v1, 2, v1
	v_lshl_or_b32 v9, v2, 2, v1
	v_lshrrev_b32_e32 v1, s9, v69
	v_bfe_u32 v2, v69, s9, 3
	ds_load_u16 v14, v9
	v_lshrrev_b32_e32 v1, 2, v1
	v_mad_u32_u24 v2, v2, 6, v0
	s_delay_alu instid0(VALU_DEP_2) | instskip(NEXT) | instid1(VALU_DEP_1)
	v_and_b32_e32 v1, 2, v1
	v_lshl_or_b32 v10, v2, 2, v1
	v_lshrrev_b32_e32 v1, s9, v68
	v_bfe_u32 v2, v68, s9, 3
	s_delay_alu instid0(VALU_DEP_2) | instskip(NEXT) | instid1(VALU_DEP_2)
	v_lshrrev_b32_e32 v1, 2, v1
	v_mad_u32_u24 v2, v2, 6, v0
	s_waitcnt lgkmcnt(0)
	v_add_nc_u16 v3, v14, 1
	s_delay_alu instid0(VALU_DEP_3)
	v_and_b32_e32 v1, 2, v1
	ds_store_b16 v9, v3
	ds_load_u16 v16, v10
	v_lshl_or_b32 v11, v2, 2, v1
	v_lshrrev_b32_e32 v1, s9, v67
	v_bfe_u32 v2, v67, s9, 3
	s_delay_alu instid0(VALU_DEP_2) | instskip(NEXT) | instid1(VALU_DEP_2)
	v_lshrrev_b32_e32 v1, 2, v1
	v_mad_u32_u24 v2, v2, 6, v0
	s_delay_alu instid0(VALU_DEP_2) | instskip(NEXT) | instid1(VALU_DEP_1)
	v_and_b32_e32 v1, 2, v1
	v_lshl_or_b32 v12, v2, 2, v1
	v_lshrrev_b32_e32 v1, s9, v66
	v_bfe_u32 v2, v66, s9, 3
	s_waitcnt lgkmcnt(0)
	v_add_nc_u16 v3, v16, 1
	s_delay_alu instid0(VALU_DEP_3) | instskip(NEXT) | instid1(VALU_DEP_3)
	v_lshrrev_b32_e32 v1, 2, v1
	v_mad_u32_u24 v2, v2, 6, v0
	ds_store_b16 v10, v3
	ds_load_u16 v18, v11
	v_and_b32_e32 v1, 2, v1
	s_delay_alu instid0(VALU_DEP_1) | instskip(SKIP_2) | instid1(VALU_DEP_2)
	v_lshl_or_b32 v13, v2, 2, v1
	v_lshrrev_b32_e32 v1, s9, v65
	v_bfe_u32 v2, v65, s9, 3
	v_lshrrev_b32_e32 v1, 2, v1
	s_delay_alu instid0(VALU_DEP_2) | instskip(NEXT) | instid1(VALU_DEP_2)
	v_mad_u32_u24 v2, v2, 6, v0
	v_and_b32_e32 v1, 2, v1
	s_waitcnt lgkmcnt(0)
	v_add_nc_u16 v3, v18, 1
	s_delay_alu instid0(VALU_DEP_2)
	v_lshl_or_b32 v15, v2, 2, v1
	v_lshrrev_b32_e32 v1, s9, v64
	ds_store_b16 v11, v3
	ds_load_u16 v20, v12
	v_bfe_u32 v2, v64, s9, 3
	v_lshrrev_b32_e32 v1, 2, v1
	s_delay_alu instid0(VALU_DEP_2) | instskip(NEXT) | instid1(VALU_DEP_2)
	v_mad_u32_u24 v2, v2, 6, v0
	v_and_b32_e32 v1, 2, v1
	s_delay_alu instid0(VALU_DEP_1) | instskip(SKIP_2) | instid1(VALU_DEP_2)
	v_lshl_or_b32 v17, v2, 2, v1
	v_lshrrev_b32_e32 v1, s9, v63
	v_bfe_u32 v2, v63, s9, 3
	v_lshrrev_b32_e32 v1, 2, v1
	s_waitcnt lgkmcnt(0)
	v_add_nc_u16 v3, v20, 1
	s_delay_alu instid0(VALU_DEP_3) | instskip(NEXT) | instid1(VALU_DEP_3)
	v_mad_u32_u24 v2, v2, 6, v0
	v_and_b32_e32 v1, 2, v1
	ds_store_b16 v12, v3
	ds_load_u16 v22, v13
	v_lshl_or_b32 v19, v2, 2, v1
	v_lshrrev_b32_e32 v1, s9, v62
	v_bfe_u32 v2, v62, s9, 3
	s_delay_alu instid0(VALU_DEP_2) | instskip(NEXT) | instid1(VALU_DEP_2)
	v_lshrrev_b32_e32 v1, 2, v1
	v_mad_u32_u24 v2, v2, 6, v0
	s_delay_alu instid0(VALU_DEP_2) | instskip(NEXT) | instid1(VALU_DEP_1)
	v_and_b32_e32 v1, 2, v1
	v_lshl_or_b32 v21, v2, 2, v1
	s_waitcnt lgkmcnt(0)
	v_add_nc_u16 v3, v22, 1
	v_lshrrev_b32_e32 v1, s9, v61
	v_bfe_u32 v2, v61, s9, 3
	ds_store_b16 v13, v3
	ds_load_u16 v24, v15
	v_lshrrev_b32_e32 v1, 2, v1
	v_mad_u32_u24 v2, v2, 6, v0
	s_delay_alu instid0(VALU_DEP_2) | instskip(NEXT) | instid1(VALU_DEP_1)
	v_and_b32_e32 v1, 2, v1
	v_lshl_or_b32 v23, v2, 2, v1
	v_lshrrev_b32_e32 v1, s9, v60
	v_bfe_u32 v2, v60, s9, 3
	s_delay_alu instid0(VALU_DEP_2) | instskip(NEXT) | instid1(VALU_DEP_2)
	v_lshrrev_b32_e32 v1, 2, v1
	v_mad_u32_u24 v2, v2, 6, v0
	s_waitcnt lgkmcnt(0)
	v_add_nc_u16 v3, v24, 1
	s_delay_alu instid0(VALU_DEP_3)
	v_and_b32_e32 v1, 2, v1
	ds_store_b16 v15, v3
	ds_load_u16 v26, v17
	v_lshl_or_b32 v25, v2, 2, v1
	v_lshrrev_b32_e32 v1, s9, v59
	v_bfe_u32 v2, v59, s9, 3
	s_delay_alu instid0(VALU_DEP_2) | instskip(NEXT) | instid1(VALU_DEP_2)
	v_lshrrev_b32_e32 v1, 2, v1
	v_mad_u32_u24 v2, v2, 6, v0
	s_delay_alu instid0(VALU_DEP_2) | instskip(NEXT) | instid1(VALU_DEP_1)
	v_and_b32_e32 v1, 2, v1
	v_lshl_or_b32 v27, v2, 2, v1
	v_lshrrev_b32_e32 v1, s9, v58
	v_bfe_u32 v2, v58, s9, 3
	s_waitcnt lgkmcnt(0)
	v_add_nc_u16 v3, v26, 1
	s_delay_alu instid0(VALU_DEP_3) | instskip(NEXT) | instid1(VALU_DEP_3)
	v_lshrrev_b32_e32 v1, 2, v1
	v_mad_u32_u24 v2, v2, 6, v0
	ds_store_b16 v17, v3
	ds_load_u16 v29, v19
	v_and_b32_e32 v1, 2, v1
	s_delay_alu instid0(VALU_DEP_1) | instskip(SKIP_2) | instid1(VALU_DEP_2)
	v_lshl_or_b32 v28, v2, 2, v1
	v_lshrrev_b32_e32 v1, s9, v57
	v_bfe_u32 v2, v57, s9, 3
	v_lshrrev_b32_e32 v1, 2, v1
	s_delay_alu instid0(VALU_DEP_2) | instskip(NEXT) | instid1(VALU_DEP_2)
	v_mad_u32_u24 v2, v2, 6, v0
	v_and_b32_e32 v1, 2, v1
	s_waitcnt lgkmcnt(0)
	v_add_nc_u16 v3, v29, 1
	s_delay_alu instid0(VALU_DEP_2)
	v_lshl_or_b32 v32, v2, 2, v1
	v_lshrrev_b32_e32 v1, s9, v56
	ds_store_b16 v19, v3
	ds_load_u16 v30, v21
	v_bfe_u32 v2, v56, s9, 3
	v_lshrrev_b32_e32 v1, 2, v1
	s_delay_alu instid0(VALU_DEP_2) | instskip(NEXT) | instid1(VALU_DEP_2)
	v_mad_u32_u24 v2, v2, 6, v0
	v_and_b32_e32 v1, 2, v1
	s_delay_alu instid0(VALU_DEP_1) | instskip(SKIP_2) | instid1(VALU_DEP_2)
	v_lshl_or_b32 v75, v2, 2, v1
	v_lshrrev_b32_e32 v1, s9, v55
	v_bfe_u32 v2, v55, s9, 3
	v_lshrrev_b32_e32 v1, 2, v1
	s_waitcnt lgkmcnt(0)
	v_add_nc_u16 v3, v30, 1
	s_delay_alu instid0(VALU_DEP_3) | instskip(NEXT) | instid1(VALU_DEP_3)
	v_mad_u32_u24 v2, v2, 6, v0
	v_and_b32_e32 v1, 2, v1
	ds_store_b16 v21, v3
	ds_load_u16 v31, v23
	v_lshl_or_b32 v76, v2, 2, v1
	v_lshrrev_b32_e32 v1, s9, v54
	v_bfe_u32 v2, v54, s9, 3
	s_delay_alu instid0(VALU_DEP_2) | instskip(NEXT) | instid1(VALU_DEP_2)
	v_lshrrev_b32_e32 v1, 2, v1
	v_mad_u32_u24 v2, v2, 6, v0
	s_delay_alu instid0(VALU_DEP_2) | instskip(NEXT) | instid1(VALU_DEP_1)
	v_and_b32_e32 v1, 2, v1
	v_lshl_or_b32 v81, v2, 2, v1
	s_waitcnt lgkmcnt(0)
	v_add_nc_u16 v3, v31, 1
	v_lshrrev_b32_e32 v1, s9, v51
	v_bfe_u32 v2, v51, s9, 3
	ds_store_b16 v23, v3
	ds_load_u16 v71, v25
	v_lshrrev_b32_e32 v1, 2, v1
	v_mad_u32_u24 v2, v2, 6, v0
	s_delay_alu instid0(VALU_DEP_2) | instskip(NEXT) | instid1(VALU_DEP_1)
	v_and_b32_e32 v1, 2, v1
	v_lshl_or_b32 v82, v2, 2, v1
	v_lshrrev_b32_e32 v1, s9, v50
	v_bfe_u32 v2, v50, s9, 3
	s_delay_alu instid0(VALU_DEP_2) | instskip(NEXT) | instid1(VALU_DEP_2)
	v_lshrrev_b32_e32 v1, 2, v1
	v_mad_u32_u24 v2, v2, 6, v0
	s_waitcnt lgkmcnt(0)
	v_add_nc_u16 v3, v71, 1
	s_delay_alu instid0(VALU_DEP_3)
	v_and_b32_e32 v1, 2, v1
	ds_store_b16 v25, v3
	ds_load_u16 v72, v27
	v_lshl_or_b32 v83, v2, 2, v1
	v_lshrrev_b32_e32 v1, s9, v49
	v_bfe_u32 v2, v49, s9, 3
	s_delay_alu instid0(VALU_DEP_2) | instskip(NEXT) | instid1(VALU_DEP_2)
	v_lshrrev_b32_e32 v1, 2, v1
	v_mad_u32_u24 v2, v2, 6, v0
	s_delay_alu instid0(VALU_DEP_2) | instskip(NEXT) | instid1(VALU_DEP_1)
	v_and_b32_e32 v1, 2, v1
	v_lshl_or_b32 v84, v2, 2, v1
	v_lshrrev_b32_e32 v1, s9, v48
	v_bfe_u32 v2, v48, s9, 3
	s_waitcnt lgkmcnt(0)
	v_add_nc_u16 v3, v72, 1
	s_delay_alu instid0(VALU_DEP_3) | instskip(NEXT) | instid1(VALU_DEP_3)
	v_lshrrev_b32_e32 v1, 2, v1
	v_mad_u32_u24 v2, v2, 6, v0
	ds_store_b16 v27, v3
	ds_load_u16 v73, v28
	v_and_b32_e32 v1, 2, v1
	s_delay_alu instid0(VALU_DEP_1) | instskip(SKIP_2) | instid1(VALU_DEP_2)
	v_lshl_or_b32 v86, v2, 2, v1
	v_lshrrev_b32_e32 v1, s9, v47
	v_bfe_u32 v2, v47, s9, 3
	v_lshrrev_b32_e32 v1, 2, v1
	s_delay_alu instid0(VALU_DEP_2) | instskip(NEXT) | instid1(VALU_DEP_2)
	v_mad_u32_u24 v2, v2, 6, v0
	v_and_b32_e32 v1, 2, v1
	s_waitcnt lgkmcnt(0)
	v_add_nc_u16 v3, v73, 1
	s_delay_alu instid0(VALU_DEP_2)
	v_lshl_or_b32 v91, v2, 2, v1
	v_lshrrev_b32_e32 v1, s9, v45
	ds_store_b16 v28, v3
	ds_load_u16 v74, v32
	v_bfe_u32 v2, v45, s9, 3
	v_lshrrev_b32_e32 v1, 2, v1
	s_delay_alu instid0(VALU_DEP_2) | instskip(NEXT) | instid1(VALU_DEP_2)
	v_mad_u32_u24 v2, v2, 6, v0
	v_and_b32_e32 v1, 2, v1
	s_delay_alu instid0(VALU_DEP_1) | instskip(SKIP_2) | instid1(VALU_DEP_2)
	v_lshl_or_b32 v92, v2, 2, v1
	v_lshrrev_b32_e32 v1, s9, v44
	v_bfe_u32 v2, v44, s9, 3
	v_lshrrev_b32_e32 v1, 2, v1
	s_waitcnt lgkmcnt(0)
	v_add_nc_u16 v3, v74, 1
	s_delay_alu instid0(VALU_DEP_3) | instskip(NEXT) | instid1(VALU_DEP_3)
	v_mad_u32_u24 v2, v2, 6, v0
	v_and_b32_e32 v1, 2, v1
	ds_store_b16 v32, v3
	ds_load_u16 v77, v75
	v_lshl_or_b32 v93, v2, 2, v1
	v_lshrrev_b32_e32 v1, s9, v43
	v_bfe_u32 v2, v43, s9, 3
	s_delay_alu instid0(VALU_DEP_2) | instskip(NEXT) | instid1(VALU_DEP_2)
	v_lshrrev_b32_e32 v1, 2, v1
	v_mad_u32_u24 v2, v2, 6, v0
	s_delay_alu instid0(VALU_DEP_2) | instskip(NEXT) | instid1(VALU_DEP_1)
	v_and_b32_e32 v1, 2, v1
	v_lshl_or_b32 v94, v2, 2, v1
	s_waitcnt lgkmcnt(0)
	v_add_nc_u16 v3, v77, 1
	v_lshrrev_b32_e32 v1, s9, v42
	v_bfe_u32 v2, v42, s9, 3
	ds_store_b16 v75, v3
	ds_load_u16 v78, v76
	v_lshrrev_b32_e32 v1, 2, v1
	v_mad_u32_u24 v2, v2, 6, v0
	s_delay_alu instid0(VALU_DEP_2) | instskip(NEXT) | instid1(VALU_DEP_1)
	v_and_b32_e32 v1, 2, v1
	v_lshl_or_b32 v96, v2, 2, v1
	v_lshrrev_b32_e32 v1, s9, v41
	v_bfe_u32 v2, v41, s9, 3
	s_delay_alu instid0(VALU_DEP_2) | instskip(NEXT) | instid1(VALU_DEP_2)
	v_lshrrev_b32_e32 v1, 2, v1
	v_mad_u32_u24 v2, v2, 6, v0
	s_waitcnt lgkmcnt(0)
	v_add_nc_u16 v3, v78, 1
	s_delay_alu instid0(VALU_DEP_3)
	v_and_b32_e32 v1, 2, v1
	ds_store_b16 v76, v3
	ds_load_u16 v79, v81
	v_lshl_or_b32 v98, v2, 2, v1
	v_lshrrev_b32_e32 v1, s9, v40
	v_bfe_u32 v2, v40, s9, 3
	s_delay_alu instid0(VALU_DEP_2) | instskip(NEXT) | instid1(VALU_DEP_2)
	v_lshrrev_b32_e32 v1, 2, v1
	v_mad_u32_u24 v2, v2, 6, v0
	s_delay_alu instid0(VALU_DEP_2) | instskip(NEXT) | instid1(VALU_DEP_1)
	v_and_b32_e32 v1, 2, v1
	v_lshl_or_b32 v99, v2, 2, v1
	v_lshrrev_b32_e32 v1, s9, v39
	v_bfe_u32 v2, v39, s9, 3
	s_waitcnt lgkmcnt(0)
	v_add_nc_u16 v3, v79, 1
	s_delay_alu instid0(VALU_DEP_3) | instskip(NEXT) | instid1(VALU_DEP_3)
	v_lshrrev_b32_e32 v1, 2, v1
	v_mad_u32_u24 v2, v2, 6, v0
	ds_store_b16 v81, v3
	ds_load_u16 v80, v82
	v_and_b32_e32 v1, 2, v1
	s_delay_alu instid0(VALU_DEP_1) | instskip(SKIP_2) | instid1(VALU_DEP_2)
	v_lshl_or_b32 v100, v2, 2, v1
	v_lshrrev_b32_e32 v1, s9, v38
	v_bfe_u32 v2, v38, s9, 3
	v_lshrrev_b32_e32 v1, 2, v1
	s_delay_alu instid0(VALU_DEP_2) | instskip(NEXT) | instid1(VALU_DEP_2)
	v_mad_u32_u24 v2, v2, 6, v0
	v_and_b32_e32 v1, 2, v1
	s_waitcnt lgkmcnt(0)
	v_add_nc_u16 v3, v80, 1
	s_delay_alu instid0(VALU_DEP_2)
	v_lshl_or_b32 v101, v2, 2, v1
	v_lshrrev_b32_e32 v1, s9, v37
	ds_store_b16 v82, v3
	ds_load_u16 v85, v83
	v_bfe_u32 v2, v37, s9, 3
	v_lshrrev_b32_e32 v1, 2, v1
	s_delay_alu instid0(VALU_DEP_2) | instskip(NEXT) | instid1(VALU_DEP_2)
	v_mad_u32_u24 v2, v2, 6, v0
	v_and_b32_e32 v1, 2, v1
	s_delay_alu instid0(VALU_DEP_1) | instskip(SKIP_2) | instid1(VALU_DEP_2)
	v_lshl_or_b32 v102, v2, 2, v1
	v_lshrrev_b32_e32 v1, s9, v36
	v_bfe_u32 v2, v36, s9, 3
	v_lshrrev_b32_e32 v1, 2, v1
	s_waitcnt lgkmcnt(0)
	v_add_nc_u16 v3, v85, 1
	s_delay_alu instid0(VALU_DEP_3) | instskip(NEXT) | instid1(VALU_DEP_3)
	v_mad_u32_u24 v2, v2, 6, v0
	v_and_b32_e32 v1, 2, v1
	ds_store_b16 v83, v3
	ds_load_u16 v87, v84
	v_lshl_or_b32 v103, v2, 2, v1
	s_waitcnt lgkmcnt(0)
	v_add_nc_u16 v3, v87, 1
	ds_store_b16 v84, v3
	ds_load_u16 v88, v86
	s_waitcnt lgkmcnt(0)
	v_add_nc_u16 v3, v88, 1
	ds_store_b16 v86, v3
	ds_load_u16 v89, v91
	;; [unrolled: 4-line block ×12, first 2 shown]
	s_waitcnt lgkmcnt(0)
	v_add_nc_u16 v1, v110, 1
	ds_store_b16 v103, v1
	s_waitcnt vmcnt(0) lgkmcnt(0)
	s_waitcnt_vscnt null, 0x0
	; wave barrier
	s_waitcnt lgkmcnt(0)
	buffer_gl0_inv
	ds_load_2addr_b32 v[7:8], v33 offset1:1
	ds_load_2addr_b32 v[5:6], v33 offset0:2 offset1:3
	ds_load_2addr_b32 v[3:4], v33 offset0:4 offset1:5
	;; [unrolled: 1-line block ×3, first 2 shown]
	s_waitcnt lgkmcnt(3)
	v_add_nc_u32_e32 v111, v8, v7
	s_waitcnt lgkmcnt(2)
	s_delay_alu instid0(VALU_DEP_1) | instskip(SKIP_1) | instid1(VALU_DEP_1)
	v_add3_u32 v111, v111, v5, v6
	s_waitcnt lgkmcnt(1)
	v_add3_u32 v111, v111, v3, v4
	s_waitcnt lgkmcnt(0)
	s_delay_alu instid0(VALU_DEP_1) | instskip(NEXT) | instid1(VALU_DEP_1)
	v_add3_u32 v2, v111, v1, v2
	v_mov_b32_dpp v111, v2 row_shr:1 row_mask:0xf bank_mask:0xf
	s_delay_alu instid0(VALU_DEP_1) | instskip(NEXT) | instid1(VALU_DEP_1)
	v_cndmask_b32_e64 v111, v111, 0, s6
	v_add_nc_u32_e32 v2, v111, v2
	s_delay_alu instid0(VALU_DEP_1) | instskip(NEXT) | instid1(VALU_DEP_1)
	v_mov_b32_dpp v111, v2 row_shr:2 row_mask:0xf bank_mask:0xf
	v_cndmask_b32_e64 v111, 0, v111, s7
	s_delay_alu instid0(VALU_DEP_1) | instskip(NEXT) | instid1(VALU_DEP_1)
	v_add_nc_u32_e32 v2, v2, v111
	v_mov_b32_dpp v111, v2 row_shr:4 row_mask:0xf bank_mask:0xf
	s_delay_alu instid0(VALU_DEP_1) | instskip(NEXT) | instid1(VALU_DEP_1)
	v_cndmask_b32_e64 v111, 0, v111, s8
	v_add_nc_u32_e32 v2, v2, v111
	s_and_saveexec_b32 s12, s4
	s_cbranch_execz .LBB18_11
; %bb.10:                               ;   in Loop: Header=BB18_6 Depth=1
	ds_store_b32 v53, v2 offset:192
.LBB18_11:                              ;   in Loop: Header=BB18_6 Depth=1
	s_or_b32 exec_lo, exec_lo, s12
	ds_bpermute_b32 v2, v52, v2
	s_waitcnt vmcnt(0) lgkmcnt(0)
	s_waitcnt_vscnt null, 0x0
	; wave barrier
	s_waitcnt lgkmcnt(0)
	buffer_gl0_inv
	ds_load_b32 v111, v53 offset:192
	v_and_b32_e32 v14, 0xffff, v14
	v_and_b32_e32 v16, 0xffff, v16
	;; [unrolled: 1-line block ×16, first 2 shown]
	v_cndmask_b32_e64 v2, v2, 0, s5
	v_and_b32_e32 v116, 0xffff, v87
	v_and_b32_e32 v117, 0xffff, v88
	;; [unrolled: 1-line block ×4, first 2 shown]
	s_waitcnt lgkmcnt(0)
	v_lshl_add_u32 v2, v111, 16, v2
	v_and_b32_e32 v111, 0xffff, v77
	v_and_b32_e32 v120, 0xffff, v95
	;; [unrolled: 1-line block ×4, first 2 shown]
	v_add_nc_u32_e32 v7, v2, v7
	v_and_b32_e32 v74, 0xffff, v74
	v_and_b32_e32 v105, 0xffff, v105
	;; [unrolled: 1-line block ×4, first 2 shown]
	v_add_nc_u32_e32 v8, v7, v8
	s_cmp_gt_u32 s9, 27
	s_delay_alu instid0(VALU_DEP_1) | instskip(NEXT) | instid1(VALU_DEP_1)
	v_add_nc_u32_e32 v5, v8, v5
	v_add_nc_u32_e32 v6, v5, v6
	s_delay_alu instid0(VALU_DEP_1) | instskip(NEXT) | instid1(VALU_DEP_1)
	v_add_nc_u32_e32 v3, v6, v3
	v_add_nc_u32_e32 v4, v3, v4
	s_delay_alu instid0(VALU_DEP_1)
	v_add_nc_u32_e32 v1, v4, v1
	ds_store_2addr_b32 v33, v2, v7 offset1:1
	ds_store_2addr_b32 v33, v8, v5 offset0:2 offset1:3
	ds_store_2addr_b32 v33, v6, v3 offset0:4 offset1:5
	;; [unrolled: 1-line block ×3, first 2 shown]
	s_waitcnt vmcnt(0) lgkmcnt(0)
	s_waitcnt_vscnt null, 0x0
	; wave barrier
	s_waitcnt lgkmcnt(0)
	buffer_gl0_inv
	ds_load_u16 v1, v9
	ds_load_u16 v2, v10
	;; [unrolled: 1-line block ×16, first 2 shown]
	v_and_b32_e32 v13, 0xffff, v104
	v_and_b32_e32 v15, 0xffff, v106
	;; [unrolled: 1-line block ×4, first 2 shown]
	s_waitcnt lgkmcnt(15)
	v_add_nc_u32_e32 v97, v1, v14
	s_waitcnt lgkmcnt(14)
	v_add_nc_u32_e32 v95, v2, v16
	;; [unrolled: 2-line block ×12, first 2 shown]
	ds_load_u16 v1, v81
	ds_load_u16 v2, v82
	;; [unrolled: 1-line block ×16, first 2 shown]
	s_waitcnt lgkmcnt(19)
	v_add_nc_u32_e32 v102, v21, v73
	s_waitcnt lgkmcnt(18)
	v_add_nc_u32_e32 v101, v23, v74
	;; [unrolled: 2-line block ×20, first 2 shown]
	s_cbranch_scc0 .LBB18_5
; %bb.12:
                                        ; implicit-def: $sgpr9
                                        ; implicit-def: $vgpr1
                                        ; implicit-def: $vgpr5
                                        ; implicit-def: $vgpr9
                                        ; implicit-def: $vgpr13
                                        ; implicit-def: $vgpr17
                                        ; implicit-def: $vgpr21
                                        ; implicit-def: $vgpr25
                                        ; implicit-def: $vgpr29
.LBB18_13:
	v_lshlrev_b32_e32 v1, 2, v97
	v_lshlrev_b32_e32 v2, 2, v95
	s_waitcnt vmcnt(0) lgkmcnt(0)
	s_waitcnt_vscnt null, 0x0
	; wave barrier
	buffer_gl0_inv
	v_lshlrev_b32_e32 v3, 2, v88
	ds_store_b32 v1, v70
	ds_store_b32 v2, v69
	v_lshlrev_b32_e32 v1, 2, v90
	v_lshlrev_b32_e32 v2, 2, v89
	v_lshlrev_b32_e32 v4, 2, v87
	v_lshlrev_b32_e32 v5, 2, v85
	ds_store_b32 v1, v68
	ds_store_b32 v2, v67
	ds_store_b32 v3, v66
	ds_store_b32 v4, v65
	ds_store_b32 v5, v64
	v_lshlrev_b32_e32 v1, 2, v80
	v_lshlrev_b32_e32 v2, 2, v79
	v_lshlrev_b32_e32 v3, 2, v78
	v_lshlrev_b32_e32 v4, 2, v77
	v_lshlrev_b32_e32 v5, 2, v75
	ds_store_b32 v1, v63
	ds_store_b32 v2, v62
	ds_store_b32 v3, v61
	ds_store_b32 v4, v60
	ds_store_b32 v5, v59
	v_lshlrev_b32_e32 v1, 2, v102
	;; [unrolled: 10-line block ×5, first 2 shown]
	v_lshlrev_b32_e32 v2, 2, v74
	v_lshlrev_b32_e32 v3, 2, v73
	;; [unrolled: 1-line block ×4, first 2 shown]
	ds_store_b32 v1, v40
	ds_store_b32 v2, v39
	;; [unrolled: 1-line block ×5, first 2 shown]
	s_waitcnt vmcnt(0) lgkmcnt(0)
	s_waitcnt_vscnt null, 0x0
	; wave barrier
	s_waitcnt lgkmcnt(0)
	buffer_gl0_inv
	ds_load_2addr_b32 v[1:2], v35 offset1:1
	ds_load_2addr_b32 v[3:4], v35 offset0:2 offset1:3
	ds_load_2addr_b32 v[5:6], v35 offset0:4 offset1:5
	;; [unrolled: 1-line block ×15, first 2 shown]
	s_waitcnt vmcnt(0) lgkmcnt(0)
	s_waitcnt_vscnt null, 0x0
	; wave barrier
	s_waitcnt lgkmcnt(0)
	buffer_gl0_inv
	s_and_saveexec_b32 s3, s2
	s_cbranch_execz .LBB18_16
; %bb.14:
	v_dual_mov_b32 v35, 0xc0 :: v_dual_add_nc_u32 v34, 48, v34
	v_mov_b32_e32 v36, v0
	s_mov_b32 s4, 0
.LBB18_15:                              ; =>This Inner Loop Header: Depth=1
	s_delay_alu instid0(VALU_DEP_1) | instskip(SKIP_4) | instid1(SALU_CYCLE_1)
	v_add_nc_u32_e32 v36, 6, v36
	ds_store_2addr_b32 v34, v35, v35 offset1:18
	v_add_nc_u32_e32 v34, 24, v34
	v_cmp_lt_u32_e32 vcc_lo, 17, v36
	s_or_b32 s4, vcc_lo, s4
	s_and_not1_b32 exec_lo, exec_lo, s4
	s_cbranch_execnz .LBB18_15
.LBB18_16:
	s_or_b32 exec_lo, exec_lo, s3
	v_lshlrev_b32_e32 v34, 2, v0
	v_lshlrev_b32_e32 v35, 2, v31
	s_mov_b32 s3, exec_lo
	s_waitcnt vmcnt(0) lgkmcnt(0)
	s_waitcnt_vscnt null, 0x0
	; wave barrier
	s_waitcnt lgkmcnt(0)
	buffer_gl0_inv
	ds_store_b32 v34, v32
	v_cmpx_ne_u32_e64 v31, v32
	s_cbranch_execz .LBB18_18
; %bb.17:
	v_or_b32_e32 v36, 31, v33
	v_lshlrev_b32_e32 v32, 2, v32
	ds_store_b32 v32, v36 offset:48
	ds_store_b32 v35, v36 offset:120
.LBB18_18:
	s_or_b32 exec_lo, exec_lo, s3
	v_cmp_ne_u32_e32 vcc_lo, v30, v31
	v_lshlrev_b32_e32 v31, 2, v30
	s_and_saveexec_b32 s3, vcc_lo
	s_cbranch_execz .LBB18_20
; %bb.19:
	v_or_b32_e32 v32, 30, v33
	ds_store_b32 v35, v32 offset:48
	ds_store_b32 v31, v32 offset:120
.LBB18_20:
	s_or_b32 exec_lo, exec_lo, s3
	v_cmp_ne_u32_e32 vcc_lo, v29, v30
	v_lshlrev_b32_e32 v30, 2, v29
	s_and_saveexec_b32 s3, vcc_lo
	s_cbranch_execz .LBB18_22
; %bb.21:
	v_or_b32_e32 v32, 29, v33
	ds_store_b32 v31, v32 offset:48
	ds_store_b32 v30, v32 offset:120
.LBB18_22:
	;; [unrolled: 10-line block ×30, first 2 shown]
	s_or_b32 exec_lo, exec_lo, s3
	v_cmp_eq_u32_e32 vcc_lo, 0, v0
	s_mov_b32 s4, exec_lo
	s_waitcnt vmcnt(0) lgkmcnt(0)
	s_waitcnt_vscnt null, 0x0
	; wave barrier
	s_waitcnt lgkmcnt(0)
	buffer_gl0_inv
	v_cmpx_ne_u32_e32 0, v0
	s_cbranch_execz .LBB18_81
; %bb.79:
	v_add_nc_u32_e32 v3, -4, v34
	ds_load_b32 v4, v3
	s_waitcnt lgkmcnt(0)
	v_cmp_ne_u32_e64 s3, v4, v1
	s_delay_alu instid0(VALU_DEP_1)
	s_and_b32 exec_lo, exec_lo, s3
	s_cbranch_execz .LBB18_81
; %bb.80:
	ds_store_b32 v2, v33 offset:48
	ds_load_b32 v1, v3
	s_waitcnt lgkmcnt(0)
	v_lshlrev_b32_e32 v1, 2, v1
	ds_store_b32 v1, v33 offset:120
.LBB18_81:
	s_or_b32 exec_lo, exec_lo, s4
	s_waitcnt vmcnt(0) lgkmcnt(0)
	s_waitcnt_vscnt null, 0x0
	; wave barrier
	s_waitcnt lgkmcnt(0)
	buffer_gl0_inv
	s_and_saveexec_b32 s3, vcc_lo
	s_cbranch_execz .LBB18_83
; %bb.82:
	v_mov_b32_e32 v1, 0
	ds_store_b32 v2, v1 offset:48
.LBB18_83:
	s_or_b32 exec_lo, exec_lo, s3
	s_waitcnt vmcnt(0) lgkmcnt(0)
	s_waitcnt_vscnt null, 0x0
	; wave barrier
	s_waitcnt lgkmcnt(0)
	buffer_gl0_inv
	s_and_saveexec_b32 s3, s2
	s_cbranch_execnz .LBB18_93
; %bb.84:
	s_or_b32 exec_lo, exec_lo, s3
	s_and_saveexec_b32 s3, s1
	s_cbranch_execnz .LBB18_94
.LBB18_85:
	s_or_b32 exec_lo, exec_lo, s3
	s_and_saveexec_b32 s3, s0
	s_cbranch_execz .LBB18_87
.LBB18_86:
	ds_load_2addr_b32 v[1:2], v34 offset0:24 offset1:42
	ds_load_b32 v3, v34 offset:816
	s_waitcnt lgkmcnt(1)
	v_sub_nc_u32_e32 v1, v2, v1
	s_waitcnt lgkmcnt(0)
	s_delay_alu instid0(VALU_DEP_1)
	v_add_nc_u32_e32 v1, v1, v3
	ds_store_b32 v34, v1 offset:816
.LBB18_87:
	s_or_b32 exec_lo, exec_lo, s3
	s_mul_i32 s3, s15, 18
	s_waitcnt lgkmcnt(0)
	v_mov_b32_e32 v1, s3
	; wave barrier
	buffer_gl0_inv
	s_and_saveexec_b32 s4, s2
	s_cbranch_execnz .LBB18_95
; %bb.88:
	s_or_b32 exec_lo, exec_lo, s4
	s_and_saveexec_b32 s2, s1
	s_cbranch_execnz .LBB18_96
.LBB18_89:
	s_or_b32 exec_lo, exec_lo, s2
	s_and_saveexec_b32 s1, s0
	s_cbranch_execnz .LBB18_97
.LBB18_90:
	s_nop 0
	s_sendmsg sendmsg(MSG_DEALLOC_VGPRS)
	s_endpgm
.LBB18_91:
	v_lshlrev_b32_e32 v35, 2, v0
	ds_store_b32 v35, v33 offset:768
	s_or_b32 exec_lo, exec_lo, s0
	v_cmp_gt_u32_e64 s1, 12, v0
	s_delay_alu instid0(VALU_DEP_1)
	s_and_saveexec_b32 s0, s1
	s_cbranch_execz .LBB18_2
.LBB18_92:
	v_lshlrev_b32_e32 v33, 2, v0
	v_mov_b32_e32 v35, 0
	ds_store_b32 v33, v35 offset:792
	s_or_b32 exec_lo, exec_lo, s0
	v_cmp_gt_u32_e64 s0, 6, v0
	s_delay_alu instid0(VALU_DEP_1)
	s_and_saveexec_b32 s3, s0
	s_cbranch_execnz .LBB18_3
	s_branch .LBB18_4
.LBB18_93:
	ds_load_2addr_b32 v[1:2], v34 offset0:12 offset1:30
	ds_load_b32 v3, v34 offset:768
	s_waitcnt lgkmcnt(1)
	v_sub_nc_u32_e32 v1, v2, v1
	s_waitcnt lgkmcnt(0)
	s_delay_alu instid0(VALU_DEP_1)
	v_add_nc_u32_e32 v1, v1, v3
	ds_store_b32 v34, v1 offset:768
	s_or_b32 exec_lo, exec_lo, s3
	s_and_saveexec_b32 s3, s1
	s_cbranch_execz .LBB18_85
.LBB18_94:
	ds_load_2addr_b32 v[1:2], v34 offset0:18 offset1:36
	ds_load_b32 v3, v34 offset:792
	s_waitcnt lgkmcnt(1)
	v_sub_nc_u32_e32 v1, v2, v1
	s_waitcnt lgkmcnt(0)
	s_delay_alu instid0(VALU_DEP_1)
	v_add_nc_u32_e32 v1, v1, v3
	ds_store_b32 v34, v1 offset:792
	s_or_b32 exec_lo, exec_lo, s3
	s_and_saveexec_b32 s3, s0
	s_cbranch_execnz .LBB18_86
	s_branch .LBB18_87
.LBB18_95:
	ds_load_b32 v5, v34 offset:768
	v_dual_mov_b32 v2, 0 :: v_dual_add_nc_u32 v1, s3, v0
	s_add_i32 s2, s3, 6
	s_delay_alu instid0(VALU_DEP_1) | instskip(NEXT) | instid1(VALU_DEP_1)
	v_lshlrev_b64 v[1:2], 2, v[1:2]
	v_add_co_u32 v3, vcc_lo, s10, v1
	s_delay_alu instid0(VALU_DEP_2)
	v_add_co_ci_u32_e32 v4, vcc_lo, s11, v2, vcc_lo
	v_mov_b32_e32 v1, s2
	s_waitcnt lgkmcnt(0)
	global_store_b32 v[3:4], v5, off
	s_or_b32 exec_lo, exec_lo, s4
	s_and_saveexec_b32 s2, s1
	s_cbranch_execz .LBB18_89
.LBB18_96:
	ds_load_b32 v4, v34 offset:792
	v_dual_mov_b32 v3, 0 :: v_dual_add_nc_u32 v2, v1, v0
	v_add_nc_u32_e32 v1, 6, v1
	s_delay_alu instid0(VALU_DEP_2) | instskip(NEXT) | instid1(VALU_DEP_1)
	v_lshlrev_b64 v[2:3], 2, v[2:3]
	v_add_co_u32 v2, vcc_lo, s10, v2
	s_delay_alu instid0(VALU_DEP_2)
	v_add_co_ci_u32_e32 v3, vcc_lo, s11, v3, vcc_lo
	s_waitcnt lgkmcnt(0)
	global_store_b32 v[2:3], v4, off
	s_or_b32 exec_lo, exec_lo, s2
	s_and_saveexec_b32 s1, s0
	s_cbranch_execz .LBB18_90
.LBB18_97:
	ds_load_b32 v2, v34 offset:816
	v_dual_mov_b32 v1, 0 :: v_dual_add_nc_u32 v0, v1, v0
	s_delay_alu instid0(VALU_DEP_1) | instskip(NEXT) | instid1(VALU_DEP_1)
	v_lshlrev_b64 v[0:1], 2, v[0:1]
	v_add_co_u32 v0, vcc_lo, s10, v0
	s_delay_alu instid0(VALU_DEP_2)
	v_add_co_ci_u32_e32 v1, vcc_lo, s11, v1, vcc_lo
	s_waitcnt lgkmcnt(0)
	global_store_b32 v[0:1], v2, off
	s_nop 0
	s_sendmsg sendmsg(MSG_DEALLOC_VGPRS)
	s_endpgm
	.section	.rodata,"a",@progbits
	.p2align	6, 0x0
	.amdhsa_kernel _Z16histogram_kernelILj6ELj32ELj18ELN6hipcub23BlockHistogramAlgorithmE1EjEvPT3_S3_
		.amdhsa_group_segment_fixed_size 840
		.amdhsa_private_segment_fixed_size 0
		.amdhsa_kernarg_size 16
		.amdhsa_user_sgpr_count 15
		.amdhsa_user_sgpr_dispatch_ptr 0
		.amdhsa_user_sgpr_queue_ptr 0
		.amdhsa_user_sgpr_kernarg_segment_ptr 1
		.amdhsa_user_sgpr_dispatch_id 0
		.amdhsa_user_sgpr_private_segment_size 0
		.amdhsa_wavefront_size32 1
		.amdhsa_uses_dynamic_stack 0
		.amdhsa_enable_private_segment 0
		.amdhsa_system_sgpr_workgroup_id_x 1
		.amdhsa_system_sgpr_workgroup_id_y 0
		.amdhsa_system_sgpr_workgroup_id_z 0
		.amdhsa_system_sgpr_workgroup_info 0
		.amdhsa_system_vgpr_workitem_id 0
		.amdhsa_next_free_vgpr 122
		.amdhsa_next_free_sgpr 16
		.amdhsa_reserve_vcc 1
		.amdhsa_float_round_mode_32 0
		.amdhsa_float_round_mode_16_64 0
		.amdhsa_float_denorm_mode_32 3
		.amdhsa_float_denorm_mode_16_64 3
		.amdhsa_dx10_clamp 1
		.amdhsa_ieee_mode 1
		.amdhsa_fp16_overflow 0
		.amdhsa_workgroup_processor_mode 1
		.amdhsa_memory_ordered 1
		.amdhsa_forward_progress 0
		.amdhsa_shared_vgpr_count 0
		.amdhsa_exception_fp_ieee_invalid_op 0
		.amdhsa_exception_fp_denorm_src 0
		.amdhsa_exception_fp_ieee_div_zero 0
		.amdhsa_exception_fp_ieee_overflow 0
		.amdhsa_exception_fp_ieee_underflow 0
		.amdhsa_exception_fp_ieee_inexact 0
		.amdhsa_exception_int_div_zero 0
	.end_amdhsa_kernel
	.section	.text._Z16histogram_kernelILj6ELj32ELj18ELN6hipcub23BlockHistogramAlgorithmE1EjEvPT3_S3_,"axG",@progbits,_Z16histogram_kernelILj6ELj32ELj18ELN6hipcub23BlockHistogramAlgorithmE1EjEvPT3_S3_,comdat
.Lfunc_end18:
	.size	_Z16histogram_kernelILj6ELj32ELj18ELN6hipcub23BlockHistogramAlgorithmE1EjEvPT3_S3_, .Lfunc_end18-_Z16histogram_kernelILj6ELj32ELj18ELN6hipcub23BlockHistogramAlgorithmE1EjEvPT3_S3_
                                        ; -- End function
	.section	.AMDGPU.csdata,"",@progbits
; Kernel info:
; codeLenInByte = 7144
; NumSgprs: 18
; NumVgprs: 122
; ScratchSize: 0
; MemoryBound: 0
; FloatMode: 240
; IeeeMode: 1
; LDSByteSize: 840 bytes/workgroup (compile time only)
; SGPRBlocks: 2
; VGPRBlocks: 15
; NumSGPRsForWavesPerEU: 18
; NumVGPRsForWavesPerEU: 122
; Occupancy: 10
; WaveLimiterHint : 0
; COMPUTE_PGM_RSRC2:SCRATCH_EN: 0
; COMPUTE_PGM_RSRC2:USER_SGPR: 15
; COMPUTE_PGM_RSRC2:TRAP_HANDLER: 0
; COMPUTE_PGM_RSRC2:TGID_X_EN: 1
; COMPUTE_PGM_RSRC2:TGID_Y_EN: 0
; COMPUTE_PGM_RSRC2:TGID_Z_EN: 0
; COMPUTE_PGM_RSRC2:TIDIG_COMP_CNT: 0
	.section	.text._Z16histogram_kernelILj255ELj15ELj255ELN6hipcub23BlockHistogramAlgorithmE0EjEvPT3_S3_,"axG",@progbits,_Z16histogram_kernelILj255ELj15ELj255ELN6hipcub23BlockHistogramAlgorithmE0EjEvPT3_S3_,comdat
	.protected	_Z16histogram_kernelILj255ELj15ELj255ELN6hipcub23BlockHistogramAlgorithmE0EjEvPT3_S3_ ; -- Begin function _Z16histogram_kernelILj255ELj15ELj255ELN6hipcub23BlockHistogramAlgorithmE0EjEvPT3_S3_
	.globl	_Z16histogram_kernelILj255ELj15ELj255ELN6hipcub23BlockHistogramAlgorithmE0EjEvPT3_S3_
	.p2align	8
	.type	_Z16histogram_kernelILj255ELj15ELj255ELN6hipcub23BlockHistogramAlgorithmE0EjEvPT3_S3_,@function
_Z16histogram_kernelILj255ELj15ELj255ELN6hipcub23BlockHistogramAlgorithmE0EjEvPT3_S3_: ; @_Z16histogram_kernelILj255ELj15ELj255ELN6hipcub23BlockHistogramAlgorithmE0EjEvPT3_S3_
; %bb.0:
	v_mad_u64_u32 v[1:2], null, 0xff, s15, v[0:1]
	s_load_b128 s[0:3], s[0:1], 0x0
	s_delay_alu instid0(VALU_DEP_1) | instskip(NEXT) | instid1(VALU_DEP_1)
	v_mul_lo_u32 v2, v1, 15
	v_dual_mov_b32 v3, 0 :: v_dual_add_nc_u32 v4, 1, v2
	s_delay_alu instid0(VALU_DEP_1) | instskip(SKIP_2) | instid1(VALU_DEP_3)
	v_dual_mov_b32 v5, v3 :: v_dual_add_nc_u32 v6, 2, v2
	v_lshlrev_b64 v[12:13], 2, v[2:3]
	v_dual_mov_b32 v7, v3 :: v_dual_add_nc_u32 v8, 3, v2
	v_lshlrev_b64 v[4:5], 2, v[4:5]
	v_dual_mov_b32 v9, v3 :: v_dual_add_nc_u32 v10, 4, v2
	s_delay_alu instid0(VALU_DEP_3)
	v_lshlrev_b64 v[6:7], 2, v[6:7]
	s_waitcnt lgkmcnt(0)
	v_add_co_u32 v12, vcc_lo, s0, v12
	v_dual_mov_b32 v11, v3 :: v_dual_add_nc_u32 v14, 5, v2
	v_add_co_ci_u32_e32 v13, vcc_lo, s1, v13, vcc_lo
	v_lshlrev_b64 v[8:9], 2, v[8:9]
	v_add_co_u32 v4, vcc_lo, s0, v4
	v_dual_mov_b32 v15, v3 :: v_dual_add_nc_u32 v16, 6, v2
	v_add_co_ci_u32_e32 v5, vcc_lo, s1, v5, vcc_lo
	v_lshlrev_b64 v[10:11], 2, v[10:11]
	v_add_co_u32 v6, vcc_lo, s0, v6
	v_dual_mov_b32 v17, v3 :: v_dual_add_nc_u32 v18, 7, v2
	v_add_co_ci_u32_e32 v7, vcc_lo, s1, v7, vcc_lo
	v_add_co_u32 v8, vcc_lo, s0, v8
	v_lshlrev_b64 v[14:15], 2, v[14:15]
	v_add_co_ci_u32_e32 v9, vcc_lo, s1, v9, vcc_lo
	v_add_co_u32 v10, vcc_lo, s0, v10
	v_lshlrev_b64 v[16:17], 2, v[16:17]
	v_mov_b32_e32 v19, v3
	v_add_co_ci_u32_e32 v11, vcc_lo, s1, v11, vcc_lo
	v_add_co_u32 v20, vcc_lo, s0, v14
	v_add_co_ci_u32_e32 v21, vcc_lo, s1, v15, vcc_lo
	s_delay_alu instid0(VALU_DEP_4)
	v_lshlrev_b64 v[14:15], 2, v[18:19]
	v_add_co_u32 v18, vcc_lo, s0, v16
	v_add_nc_u32_e32 v16, 8, v2
	v_add_co_ci_u32_e32 v19, vcc_lo, s1, v17, vcc_lo
	v_dual_mov_b32 v17, v3 :: v_dual_add_nc_u32 v26, 9, v2
	v_mov_b32_e32 v27, v3
	v_add_co_u32 v22, vcc_lo, s0, v14
	s_delay_alu instid0(VALU_DEP_3)
	v_lshlrev_b64 v[24:25], 2, v[16:17]
	v_add_co_ci_u32_e32 v23, vcc_lo, s1, v15, vcc_lo
	s_clause 0x7
	global_load_b32 v17, v[12:13], off
	global_load_b32 v16, v[4:5], off
	global_load_b32 v15, v[6:7], off
	global_load_b32 v14, v[8:9], off
	global_load_b32 v13, v[10:11], off
	global_load_b32 v12, v[20:21], off
	global_load_b32 v11, v[18:19], off
	global_load_b32 v10, v[22:23], off
	v_dual_mov_b32 v7, v3 :: v_dual_add_nc_u32 v6, 10, v2
	v_add_nc_u32_e32 v18, 11, v2
	v_lshlrev_b64 v[4:5], 2, v[26:27]
	v_dual_mov_b32 v19, v3 :: v_dual_add_nc_u32 v20, 12, v2
	v_add_co_u32 v8, vcc_lo, s0, v24
	v_lshlrev_b64 v[6:7], 2, v[6:7]
	v_dual_mov_b32 v21, v3 :: v_dual_add_nc_u32 v22, 13, v2
	v_add_co_ci_u32_e32 v9, vcc_lo, s1, v25, vcc_lo
	v_add_co_u32 v4, vcc_lo, s0, v4
	v_lshlrev_b64 v[18:19], 2, v[18:19]
	v_dual_mov_b32 v23, v3 :: v_dual_add_nc_u32 v2, 14, v2
	v_add_co_ci_u32_e32 v5, vcc_lo, s1, v5, vcc_lo
	v_add_co_u32 v6, vcc_lo, s0, v6
	v_lshlrev_b64 v[20:21], 2, v[20:21]
	v_add_co_ci_u32_e32 v7, vcc_lo, s1, v7, vcc_lo
	v_add_co_u32 v18, vcc_lo, s0, v18
	v_lshlrev_b64 v[22:23], 2, v[22:23]
	;; [unrolled: 3-line block ×3, first 2 shown]
	v_add_co_ci_u32_e32 v21, vcc_lo, s1, v21, vcc_lo
	v_add_co_u32 v22, vcc_lo, s0, v22
	v_add_co_ci_u32_e32 v23, vcc_lo, s1, v23, vcc_lo
	s_delay_alu instid0(VALU_DEP_4)
	v_add_co_u32 v24, vcc_lo, s0, v24
	v_add_co_ci_u32_e32 v25, vcc_lo, s1, v25, vcc_lo
	s_clause 0x6
	global_load_b32 v9, v[8:9], off
	global_load_b32 v8, v[4:5], off
	;; [unrolled: 1-line block ×7, first 2 shown]
	v_cmp_gt_u32_e32 vcc_lo, 0xff, v0
	v_lshlrev_b32_e32 v0, 2, v0
	s_and_saveexec_b32 s0, vcc_lo
	s_cbranch_execz .LBB19_2
; %bb.1:
	ds_store_b32 v0, v3
.LBB19_2:
	s_or_b32 exec_lo, exec_lo, s0
	s_waitcnt vmcnt(14)
	v_and_b32_e32 v3, 1, v17
	v_lshlrev_b32_e32 v18, 30, v17
	v_lshlrev_b32_e32 v19, 29, v17
	;; [unrolled: 1-line block ×4, first 2 shown]
	v_add_co_u32 v3, s0, v3, -1
	s_delay_alu instid0(VALU_DEP_1)
	v_cndmask_b32_e64 v20, 0, 1, s0
	v_not_b32_e32 v24, v18
	v_cmp_gt_i32_e64 s1, 0, v18
	v_not_b32_e32 v18, v19
	v_lshlrev_b32_e32 v23, 26, v17
	v_cmp_ne_u32_e64 s0, 0, v20
	v_ashrrev_i32_e32 v24, 31, v24
	v_lshlrev_b32_e32 v20, 25, v17
	v_ashrrev_i32_e32 v18, 31, v18
	s_waitcnt vmcnt(0) lgkmcnt(0)
	v_xor_b32_e32 v3, s0, v3
	v_cmp_gt_i32_e64 s0, 0, v19
	v_not_b32_e32 v19, v21
	v_xor_b32_e32 v24, s1, v24
	v_cmp_gt_i32_e64 s1, 0, v21
	v_and_b32_e32 v3, exec_lo, v3
	v_not_b32_e32 v21, v22
	v_ashrrev_i32_e32 v19, 31, v19
	v_xor_b32_e32 v18, s0, v18
	v_cmp_gt_i32_e64 s0, 0, v22
	v_and_b32_e32 v3, v3, v24
	v_not_b32_e32 v22, v23
	v_ashrrev_i32_e32 v21, 31, v21
	v_xor_b32_e32 v19, s1, v19
	v_cmp_gt_i32_e64 s1, 0, v23
	v_and_b32_e32 v3, v3, v18
	;; [unrolled: 5-line block ×3, first 2 shown]
	v_lshlrev_b32_e32 v19, 24, v17
	v_ashrrev_i32_e32 v18, 31, v18
	v_xor_b32_e32 v20, s1, v22
	s_barrier
	v_and_b32_e32 v3, v3, v21
	v_not_b32_e32 v21, v19
	v_cmp_gt_i32_e64 s1, 0, v19
	v_xor_b32_e32 v18, s0, v18
	buffer_gl0_inv
	v_and_b32_e32 v3, v3, v20
	v_ashrrev_i32_e32 v19, 31, v21
	s_delay_alu instid0(VALU_DEP_2) | instskip(NEXT) | instid1(VALU_DEP_2)
	v_and_b32_e32 v3, v3, v18
	v_xor_b32_e32 v18, s1, v19
	s_mov_b32 s1, exec_lo
	s_delay_alu instid0(VALU_DEP_1) | instskip(NEXT) | instid1(VALU_DEP_1)
	v_and_b32_e32 v3, v3, v18
	v_mbcnt_lo_u32_b32 v18, v3, 0
	s_delay_alu instid0(VALU_DEP_1)
	v_cmpx_eq_u32_e32 0, v18
	s_cbranch_execz .LBB19_4
; %bb.3:
	v_lshlrev_b32_e32 v17, 2, v17
	v_bcnt_u32_b32 v3, v3, 0
	ds_add_u32 v17, v3
.LBB19_4:
	s_or_b32 exec_lo, exec_lo, s1
	v_and_b32_e32 v3, 1, v16
	v_lshlrev_b32_e32 v17, 30, v16
	v_lshlrev_b32_e32 v18, 29, v16
	;; [unrolled: 1-line block ×4, first 2 shown]
	v_add_co_u32 v3, s0, v3, -1
	s_delay_alu instid0(VALU_DEP_1)
	v_cndmask_b32_e64 v19, 0, 1, s0
	v_not_b32_e32 v23, v17
	v_cmp_gt_i32_e64 s1, 0, v17
	v_not_b32_e32 v17, v18
	v_lshlrev_b32_e32 v22, 26, v16
	v_cmp_ne_u32_e64 s0, 0, v19
	v_ashrrev_i32_e32 v23, 31, v23
	v_lshlrev_b32_e32 v19, 25, v16
	v_ashrrev_i32_e32 v17, 31, v17
	s_delay_alu instid0(VALU_DEP_4)
	v_xor_b32_e32 v3, s0, v3
	v_cmp_gt_i32_e64 s0, 0, v18
	v_not_b32_e32 v18, v20
	v_xor_b32_e32 v23, s1, v23
	v_cmp_gt_i32_e64 s1, 0, v20
	v_and_b32_e32 v3, exec_lo, v3
	v_not_b32_e32 v20, v21
	v_ashrrev_i32_e32 v18, 31, v18
	v_xor_b32_e32 v17, s0, v17
	v_cmp_gt_i32_e64 s0, 0, v21
	v_and_b32_e32 v3, v3, v23
	v_not_b32_e32 v21, v22
	v_ashrrev_i32_e32 v20, 31, v20
	v_xor_b32_e32 v18, s1, v18
	v_cmp_gt_i32_e64 s1, 0, v22
	v_and_b32_e32 v3, v3, v17
	v_not_b32_e32 v17, v19
	v_ashrrev_i32_e32 v21, 31, v21
	v_xor_b32_e32 v20, s0, v20
	v_cmp_gt_i32_e64 s0, 0, v19
	v_and_b32_e32 v3, v3, v18
	v_lshlrev_b32_e32 v18, 24, v16
	v_ashrrev_i32_e32 v17, 31, v17
	v_xor_b32_e32 v19, s1, v21
	s_delay_alu instid0(VALU_DEP_4) | instskip(NEXT) | instid1(VALU_DEP_4)
	v_and_b32_e32 v3, v3, v20
	v_not_b32_e32 v20, v18
	v_cmp_gt_i32_e64 s1, 0, v18
	v_xor_b32_e32 v17, s0, v17
	s_delay_alu instid0(VALU_DEP_4) | instskip(NEXT) | instid1(VALU_DEP_4)
	v_and_b32_e32 v3, v3, v19
	v_ashrrev_i32_e32 v18, 31, v20
	s_delay_alu instid0(VALU_DEP_2) | instskip(NEXT) | instid1(VALU_DEP_2)
	v_and_b32_e32 v3, v3, v17
	v_xor_b32_e32 v17, s1, v18
	s_mov_b32 s1, exec_lo
	s_delay_alu instid0(VALU_DEP_1) | instskip(NEXT) | instid1(VALU_DEP_1)
	v_and_b32_e32 v3, v3, v17
	v_mbcnt_lo_u32_b32 v17, v3, 0
	s_delay_alu instid0(VALU_DEP_1)
	v_cmpx_eq_u32_e32 0, v17
	s_cbranch_execz .LBB19_6
; %bb.5:
	v_lshlrev_b32_e32 v16, 2, v16
	v_bcnt_u32_b32 v3, v3, 0
	ds_add_u32 v16, v3
.LBB19_6:
	s_or_b32 exec_lo, exec_lo, s1
	v_and_b32_e32 v3, 1, v15
	v_lshlrev_b32_e32 v16, 30, v15
	v_lshlrev_b32_e32 v17, 29, v15
	;; [unrolled: 1-line block ×4, first 2 shown]
	v_add_co_u32 v3, s0, v3, -1
	s_delay_alu instid0(VALU_DEP_1)
	v_cndmask_b32_e64 v18, 0, 1, s0
	v_not_b32_e32 v22, v16
	v_cmp_gt_i32_e64 s1, 0, v16
	v_not_b32_e32 v16, v17
	v_lshlrev_b32_e32 v21, 26, v15
	v_cmp_ne_u32_e64 s0, 0, v18
	v_ashrrev_i32_e32 v22, 31, v22
	v_lshlrev_b32_e32 v18, 25, v15
	v_ashrrev_i32_e32 v16, 31, v16
	s_delay_alu instid0(VALU_DEP_4)
	v_xor_b32_e32 v3, s0, v3
	v_cmp_gt_i32_e64 s0, 0, v17
	v_not_b32_e32 v17, v19
	v_xor_b32_e32 v22, s1, v22
	v_cmp_gt_i32_e64 s1, 0, v19
	v_and_b32_e32 v3, exec_lo, v3
	v_not_b32_e32 v19, v20
	v_ashrrev_i32_e32 v17, 31, v17
	v_xor_b32_e32 v16, s0, v16
	v_cmp_gt_i32_e64 s0, 0, v20
	v_and_b32_e32 v3, v3, v22
	v_not_b32_e32 v20, v21
	v_ashrrev_i32_e32 v19, 31, v19
	v_xor_b32_e32 v17, s1, v17
	v_cmp_gt_i32_e64 s1, 0, v21
	v_and_b32_e32 v3, v3, v16
	;; [unrolled: 5-line block ×3, first 2 shown]
	v_lshlrev_b32_e32 v17, 24, v15
	v_ashrrev_i32_e32 v16, 31, v16
	v_xor_b32_e32 v18, s1, v20
	s_delay_alu instid0(VALU_DEP_4) | instskip(NEXT) | instid1(VALU_DEP_4)
	v_and_b32_e32 v3, v3, v19
	v_not_b32_e32 v19, v17
	v_cmp_gt_i32_e64 s1, 0, v17
	v_xor_b32_e32 v16, s0, v16
	s_delay_alu instid0(VALU_DEP_4) | instskip(NEXT) | instid1(VALU_DEP_4)
	v_and_b32_e32 v3, v3, v18
	v_ashrrev_i32_e32 v17, 31, v19
	s_delay_alu instid0(VALU_DEP_2) | instskip(NEXT) | instid1(VALU_DEP_2)
	v_and_b32_e32 v3, v3, v16
	v_xor_b32_e32 v16, s1, v17
	s_mov_b32 s1, exec_lo
	s_delay_alu instid0(VALU_DEP_1) | instskip(NEXT) | instid1(VALU_DEP_1)
	v_and_b32_e32 v3, v3, v16
	v_mbcnt_lo_u32_b32 v16, v3, 0
	s_delay_alu instid0(VALU_DEP_1)
	v_cmpx_eq_u32_e32 0, v16
	s_cbranch_execz .LBB19_8
; %bb.7:
	v_lshlrev_b32_e32 v15, 2, v15
	v_bcnt_u32_b32 v3, v3, 0
	ds_add_u32 v15, v3
.LBB19_8:
	s_or_b32 exec_lo, exec_lo, s1
	v_and_b32_e32 v3, 1, v14
	v_lshlrev_b32_e32 v15, 30, v14
	v_lshlrev_b32_e32 v16, 29, v14
	;; [unrolled: 1-line block ×4, first 2 shown]
	v_add_co_u32 v3, s0, v3, -1
	s_delay_alu instid0(VALU_DEP_1)
	v_cndmask_b32_e64 v17, 0, 1, s0
	v_not_b32_e32 v21, v15
	v_cmp_gt_i32_e64 s1, 0, v15
	v_not_b32_e32 v15, v16
	v_lshlrev_b32_e32 v20, 26, v14
	v_cmp_ne_u32_e64 s0, 0, v17
	v_ashrrev_i32_e32 v21, 31, v21
	v_lshlrev_b32_e32 v17, 25, v14
	v_ashrrev_i32_e32 v15, 31, v15
	s_delay_alu instid0(VALU_DEP_4)
	v_xor_b32_e32 v3, s0, v3
	v_cmp_gt_i32_e64 s0, 0, v16
	v_not_b32_e32 v16, v18
	v_xor_b32_e32 v21, s1, v21
	v_cmp_gt_i32_e64 s1, 0, v18
	v_and_b32_e32 v3, exec_lo, v3
	v_not_b32_e32 v18, v19
	v_ashrrev_i32_e32 v16, 31, v16
	v_xor_b32_e32 v15, s0, v15
	v_cmp_gt_i32_e64 s0, 0, v19
	v_and_b32_e32 v3, v3, v21
	v_not_b32_e32 v19, v20
	v_ashrrev_i32_e32 v18, 31, v18
	v_xor_b32_e32 v16, s1, v16
	v_cmp_gt_i32_e64 s1, 0, v20
	v_and_b32_e32 v3, v3, v15
	v_not_b32_e32 v15, v17
	v_ashrrev_i32_e32 v19, 31, v19
	v_xor_b32_e32 v18, s0, v18
	v_cmp_gt_i32_e64 s0, 0, v17
	v_and_b32_e32 v3, v3, v16
	v_lshlrev_b32_e32 v16, 24, v14
	v_ashrrev_i32_e32 v15, 31, v15
	v_xor_b32_e32 v17, s1, v19
	s_delay_alu instid0(VALU_DEP_4) | instskip(NEXT) | instid1(VALU_DEP_4)
	v_and_b32_e32 v3, v3, v18
	v_not_b32_e32 v18, v16
	v_cmp_gt_i32_e64 s1, 0, v16
	v_xor_b32_e32 v15, s0, v15
	s_delay_alu instid0(VALU_DEP_4) | instskip(NEXT) | instid1(VALU_DEP_4)
	v_and_b32_e32 v3, v3, v17
	v_ashrrev_i32_e32 v16, 31, v18
	s_delay_alu instid0(VALU_DEP_2) | instskip(NEXT) | instid1(VALU_DEP_2)
	v_and_b32_e32 v3, v3, v15
	v_xor_b32_e32 v15, s1, v16
	s_mov_b32 s1, exec_lo
	s_delay_alu instid0(VALU_DEP_1) | instskip(NEXT) | instid1(VALU_DEP_1)
	v_and_b32_e32 v3, v3, v15
	v_mbcnt_lo_u32_b32 v15, v3, 0
	s_delay_alu instid0(VALU_DEP_1)
	v_cmpx_eq_u32_e32 0, v15
	s_cbranch_execz .LBB19_10
; %bb.9:
	v_lshlrev_b32_e32 v14, 2, v14
	v_bcnt_u32_b32 v3, v3, 0
	ds_add_u32 v14, v3
.LBB19_10:
	s_or_b32 exec_lo, exec_lo, s1
	v_and_b32_e32 v3, 1, v13
	v_lshlrev_b32_e32 v14, 30, v13
	v_lshlrev_b32_e32 v15, 29, v13
	;; [unrolled: 1-line block ×4, first 2 shown]
	v_add_co_u32 v3, s0, v3, -1
	s_delay_alu instid0(VALU_DEP_1)
	v_cndmask_b32_e64 v16, 0, 1, s0
	v_not_b32_e32 v20, v14
	v_cmp_gt_i32_e64 s1, 0, v14
	v_not_b32_e32 v14, v15
	v_lshlrev_b32_e32 v19, 26, v13
	v_cmp_ne_u32_e64 s0, 0, v16
	v_ashrrev_i32_e32 v20, 31, v20
	v_lshlrev_b32_e32 v16, 25, v13
	v_ashrrev_i32_e32 v14, 31, v14
	s_delay_alu instid0(VALU_DEP_4)
	v_xor_b32_e32 v3, s0, v3
	v_cmp_gt_i32_e64 s0, 0, v15
	v_not_b32_e32 v15, v17
	v_xor_b32_e32 v20, s1, v20
	v_cmp_gt_i32_e64 s1, 0, v17
	v_and_b32_e32 v3, exec_lo, v3
	v_not_b32_e32 v17, v18
	v_ashrrev_i32_e32 v15, 31, v15
	v_xor_b32_e32 v14, s0, v14
	v_cmp_gt_i32_e64 s0, 0, v18
	v_and_b32_e32 v3, v3, v20
	v_not_b32_e32 v18, v19
	v_ashrrev_i32_e32 v17, 31, v17
	v_xor_b32_e32 v15, s1, v15
	v_cmp_gt_i32_e64 s1, 0, v19
	v_and_b32_e32 v3, v3, v14
	;; [unrolled: 5-line block ×3, first 2 shown]
	v_lshlrev_b32_e32 v15, 24, v13
	v_ashrrev_i32_e32 v14, 31, v14
	v_xor_b32_e32 v16, s1, v18
	s_delay_alu instid0(VALU_DEP_4) | instskip(NEXT) | instid1(VALU_DEP_4)
	v_and_b32_e32 v3, v3, v17
	v_not_b32_e32 v17, v15
	v_cmp_gt_i32_e64 s1, 0, v15
	v_xor_b32_e32 v14, s0, v14
	s_delay_alu instid0(VALU_DEP_4) | instskip(NEXT) | instid1(VALU_DEP_4)
	v_and_b32_e32 v3, v3, v16
	v_ashrrev_i32_e32 v15, 31, v17
	s_delay_alu instid0(VALU_DEP_2) | instskip(NEXT) | instid1(VALU_DEP_2)
	v_and_b32_e32 v3, v3, v14
	v_xor_b32_e32 v14, s1, v15
	s_mov_b32 s1, exec_lo
	s_delay_alu instid0(VALU_DEP_1) | instskip(NEXT) | instid1(VALU_DEP_1)
	v_and_b32_e32 v3, v3, v14
	v_mbcnt_lo_u32_b32 v14, v3, 0
	s_delay_alu instid0(VALU_DEP_1)
	v_cmpx_eq_u32_e32 0, v14
	s_cbranch_execz .LBB19_12
; %bb.11:
	v_lshlrev_b32_e32 v13, 2, v13
	v_bcnt_u32_b32 v3, v3, 0
	ds_add_u32 v13, v3
.LBB19_12:
	s_or_b32 exec_lo, exec_lo, s1
	v_and_b32_e32 v3, 1, v12
	v_lshlrev_b32_e32 v13, 30, v12
	v_lshlrev_b32_e32 v14, 29, v12
	;; [unrolled: 1-line block ×4, first 2 shown]
	v_add_co_u32 v3, s0, v3, -1
	s_delay_alu instid0(VALU_DEP_1)
	v_cndmask_b32_e64 v15, 0, 1, s0
	v_not_b32_e32 v19, v13
	v_cmp_gt_i32_e64 s1, 0, v13
	v_not_b32_e32 v13, v14
	v_lshlrev_b32_e32 v18, 26, v12
	v_cmp_ne_u32_e64 s0, 0, v15
	v_ashrrev_i32_e32 v19, 31, v19
	v_lshlrev_b32_e32 v15, 25, v12
	v_ashrrev_i32_e32 v13, 31, v13
	s_delay_alu instid0(VALU_DEP_4)
	v_xor_b32_e32 v3, s0, v3
	v_cmp_gt_i32_e64 s0, 0, v14
	v_not_b32_e32 v14, v16
	v_xor_b32_e32 v19, s1, v19
	v_cmp_gt_i32_e64 s1, 0, v16
	v_and_b32_e32 v3, exec_lo, v3
	v_not_b32_e32 v16, v17
	v_ashrrev_i32_e32 v14, 31, v14
	v_xor_b32_e32 v13, s0, v13
	v_cmp_gt_i32_e64 s0, 0, v17
	v_and_b32_e32 v3, v3, v19
	v_not_b32_e32 v17, v18
	v_ashrrev_i32_e32 v16, 31, v16
	v_xor_b32_e32 v14, s1, v14
	v_cmp_gt_i32_e64 s1, 0, v18
	v_and_b32_e32 v3, v3, v13
	;; [unrolled: 5-line block ×3, first 2 shown]
	v_lshlrev_b32_e32 v14, 24, v12
	v_ashrrev_i32_e32 v13, 31, v13
	v_xor_b32_e32 v15, s1, v17
	s_delay_alu instid0(VALU_DEP_4) | instskip(NEXT) | instid1(VALU_DEP_4)
	v_and_b32_e32 v3, v3, v16
	v_not_b32_e32 v16, v14
	v_cmp_gt_i32_e64 s1, 0, v14
	v_xor_b32_e32 v13, s0, v13
	s_delay_alu instid0(VALU_DEP_4) | instskip(NEXT) | instid1(VALU_DEP_4)
	v_and_b32_e32 v3, v3, v15
	v_ashrrev_i32_e32 v14, 31, v16
	s_delay_alu instid0(VALU_DEP_2) | instskip(NEXT) | instid1(VALU_DEP_2)
	v_and_b32_e32 v3, v3, v13
	v_xor_b32_e32 v13, s1, v14
	s_mov_b32 s1, exec_lo
	s_delay_alu instid0(VALU_DEP_1) | instskip(NEXT) | instid1(VALU_DEP_1)
	v_and_b32_e32 v3, v3, v13
	v_mbcnt_lo_u32_b32 v13, v3, 0
	s_delay_alu instid0(VALU_DEP_1)
	v_cmpx_eq_u32_e32 0, v13
	s_cbranch_execz .LBB19_14
; %bb.13:
	v_lshlrev_b32_e32 v12, 2, v12
	v_bcnt_u32_b32 v3, v3, 0
	ds_add_u32 v12, v3
.LBB19_14:
	s_or_b32 exec_lo, exec_lo, s1
	v_and_b32_e32 v3, 1, v11
	v_lshlrev_b32_e32 v12, 30, v11
	v_lshlrev_b32_e32 v13, 29, v11
	;; [unrolled: 1-line block ×4, first 2 shown]
	v_add_co_u32 v3, s0, v3, -1
	s_delay_alu instid0(VALU_DEP_1)
	v_cndmask_b32_e64 v14, 0, 1, s0
	v_not_b32_e32 v18, v12
	v_cmp_gt_i32_e64 s1, 0, v12
	v_not_b32_e32 v12, v13
	v_lshlrev_b32_e32 v17, 26, v11
	v_cmp_ne_u32_e64 s0, 0, v14
	v_ashrrev_i32_e32 v18, 31, v18
	v_lshlrev_b32_e32 v14, 25, v11
	v_ashrrev_i32_e32 v12, 31, v12
	s_delay_alu instid0(VALU_DEP_4)
	v_xor_b32_e32 v3, s0, v3
	v_cmp_gt_i32_e64 s0, 0, v13
	v_not_b32_e32 v13, v15
	v_xor_b32_e32 v18, s1, v18
	v_cmp_gt_i32_e64 s1, 0, v15
	v_and_b32_e32 v3, exec_lo, v3
	v_not_b32_e32 v15, v16
	v_ashrrev_i32_e32 v13, 31, v13
	v_xor_b32_e32 v12, s0, v12
	v_cmp_gt_i32_e64 s0, 0, v16
	v_and_b32_e32 v3, v3, v18
	v_not_b32_e32 v16, v17
	v_ashrrev_i32_e32 v15, 31, v15
	v_xor_b32_e32 v13, s1, v13
	v_cmp_gt_i32_e64 s1, 0, v17
	v_and_b32_e32 v3, v3, v12
	;; [unrolled: 5-line block ×3, first 2 shown]
	v_lshlrev_b32_e32 v13, 24, v11
	v_ashrrev_i32_e32 v12, 31, v12
	v_xor_b32_e32 v14, s1, v16
	s_delay_alu instid0(VALU_DEP_4) | instskip(NEXT) | instid1(VALU_DEP_4)
	v_and_b32_e32 v3, v3, v15
	v_not_b32_e32 v15, v13
	v_cmp_gt_i32_e64 s1, 0, v13
	v_xor_b32_e32 v12, s0, v12
	s_delay_alu instid0(VALU_DEP_4) | instskip(NEXT) | instid1(VALU_DEP_4)
	v_and_b32_e32 v3, v3, v14
	v_ashrrev_i32_e32 v13, 31, v15
	s_delay_alu instid0(VALU_DEP_2) | instskip(NEXT) | instid1(VALU_DEP_2)
	v_and_b32_e32 v3, v3, v12
	v_xor_b32_e32 v12, s1, v13
	s_mov_b32 s1, exec_lo
	s_delay_alu instid0(VALU_DEP_1) | instskip(NEXT) | instid1(VALU_DEP_1)
	v_and_b32_e32 v3, v3, v12
	v_mbcnt_lo_u32_b32 v12, v3, 0
	s_delay_alu instid0(VALU_DEP_1)
	v_cmpx_eq_u32_e32 0, v12
	s_cbranch_execz .LBB19_16
; %bb.15:
	v_lshlrev_b32_e32 v11, 2, v11
	v_bcnt_u32_b32 v3, v3, 0
	ds_add_u32 v11, v3
.LBB19_16:
	s_or_b32 exec_lo, exec_lo, s1
	v_and_b32_e32 v3, 1, v10
	v_lshlrev_b32_e32 v11, 30, v10
	v_lshlrev_b32_e32 v12, 29, v10
	;; [unrolled: 1-line block ×4, first 2 shown]
	v_add_co_u32 v3, s0, v3, -1
	s_delay_alu instid0(VALU_DEP_1)
	v_cndmask_b32_e64 v13, 0, 1, s0
	v_not_b32_e32 v17, v11
	v_cmp_gt_i32_e64 s1, 0, v11
	v_not_b32_e32 v11, v12
	v_lshlrev_b32_e32 v16, 26, v10
	v_cmp_ne_u32_e64 s0, 0, v13
	v_ashrrev_i32_e32 v17, 31, v17
	v_lshlrev_b32_e32 v13, 25, v10
	v_ashrrev_i32_e32 v11, 31, v11
	s_delay_alu instid0(VALU_DEP_4)
	v_xor_b32_e32 v3, s0, v3
	v_cmp_gt_i32_e64 s0, 0, v12
	v_not_b32_e32 v12, v14
	v_xor_b32_e32 v17, s1, v17
	v_cmp_gt_i32_e64 s1, 0, v14
	v_and_b32_e32 v3, exec_lo, v3
	v_not_b32_e32 v14, v15
	v_ashrrev_i32_e32 v12, 31, v12
	v_xor_b32_e32 v11, s0, v11
	v_cmp_gt_i32_e64 s0, 0, v15
	v_and_b32_e32 v3, v3, v17
	v_not_b32_e32 v15, v16
	v_ashrrev_i32_e32 v14, 31, v14
	v_xor_b32_e32 v12, s1, v12
	v_cmp_gt_i32_e64 s1, 0, v16
	v_and_b32_e32 v3, v3, v11
	;; [unrolled: 5-line block ×3, first 2 shown]
	v_lshlrev_b32_e32 v12, 24, v10
	v_ashrrev_i32_e32 v11, 31, v11
	v_xor_b32_e32 v13, s1, v15
	s_delay_alu instid0(VALU_DEP_4) | instskip(NEXT) | instid1(VALU_DEP_4)
	v_and_b32_e32 v3, v3, v14
	v_not_b32_e32 v14, v12
	v_cmp_gt_i32_e64 s1, 0, v12
	v_xor_b32_e32 v11, s0, v11
	s_delay_alu instid0(VALU_DEP_4) | instskip(NEXT) | instid1(VALU_DEP_4)
	v_and_b32_e32 v3, v3, v13
	v_ashrrev_i32_e32 v12, 31, v14
	s_delay_alu instid0(VALU_DEP_2) | instskip(NEXT) | instid1(VALU_DEP_2)
	v_and_b32_e32 v3, v3, v11
	v_xor_b32_e32 v11, s1, v12
	s_mov_b32 s1, exec_lo
	s_delay_alu instid0(VALU_DEP_1) | instskip(NEXT) | instid1(VALU_DEP_1)
	v_and_b32_e32 v3, v3, v11
	v_mbcnt_lo_u32_b32 v11, v3, 0
	s_delay_alu instid0(VALU_DEP_1)
	v_cmpx_eq_u32_e32 0, v11
	s_cbranch_execz .LBB19_18
; %bb.17:
	v_lshlrev_b32_e32 v10, 2, v10
	v_bcnt_u32_b32 v3, v3, 0
	ds_add_u32 v10, v3
.LBB19_18:
	s_or_b32 exec_lo, exec_lo, s1
	v_and_b32_e32 v3, 1, v9
	v_lshlrev_b32_e32 v10, 30, v9
	v_lshlrev_b32_e32 v11, 29, v9
	;; [unrolled: 1-line block ×4, first 2 shown]
	v_add_co_u32 v3, s0, v3, -1
	s_delay_alu instid0(VALU_DEP_1)
	v_cndmask_b32_e64 v12, 0, 1, s0
	v_not_b32_e32 v16, v10
	v_cmp_gt_i32_e64 s1, 0, v10
	v_not_b32_e32 v10, v11
	v_lshlrev_b32_e32 v15, 26, v9
	v_cmp_ne_u32_e64 s0, 0, v12
	v_ashrrev_i32_e32 v16, 31, v16
	v_lshlrev_b32_e32 v12, 25, v9
	v_ashrrev_i32_e32 v10, 31, v10
	s_delay_alu instid0(VALU_DEP_4)
	v_xor_b32_e32 v3, s0, v3
	v_cmp_gt_i32_e64 s0, 0, v11
	v_not_b32_e32 v11, v13
	v_xor_b32_e32 v16, s1, v16
	v_cmp_gt_i32_e64 s1, 0, v13
	v_and_b32_e32 v3, exec_lo, v3
	v_not_b32_e32 v13, v14
	v_ashrrev_i32_e32 v11, 31, v11
	v_xor_b32_e32 v10, s0, v10
	v_cmp_gt_i32_e64 s0, 0, v14
	v_and_b32_e32 v3, v3, v16
	v_not_b32_e32 v14, v15
	v_ashrrev_i32_e32 v13, 31, v13
	v_xor_b32_e32 v11, s1, v11
	v_cmp_gt_i32_e64 s1, 0, v15
	v_and_b32_e32 v3, v3, v10
	;; [unrolled: 5-line block ×3, first 2 shown]
	v_lshlrev_b32_e32 v11, 24, v9
	v_ashrrev_i32_e32 v10, 31, v10
	v_xor_b32_e32 v12, s1, v14
	s_delay_alu instid0(VALU_DEP_4) | instskip(NEXT) | instid1(VALU_DEP_4)
	v_and_b32_e32 v3, v3, v13
	v_not_b32_e32 v13, v11
	v_cmp_gt_i32_e64 s1, 0, v11
	v_xor_b32_e32 v10, s0, v10
	s_delay_alu instid0(VALU_DEP_4) | instskip(NEXT) | instid1(VALU_DEP_4)
	v_and_b32_e32 v3, v3, v12
	v_ashrrev_i32_e32 v11, 31, v13
	s_delay_alu instid0(VALU_DEP_2) | instskip(NEXT) | instid1(VALU_DEP_2)
	v_and_b32_e32 v3, v3, v10
	v_xor_b32_e32 v10, s1, v11
	s_mov_b32 s1, exec_lo
	s_delay_alu instid0(VALU_DEP_1) | instskip(NEXT) | instid1(VALU_DEP_1)
	v_and_b32_e32 v3, v3, v10
	v_mbcnt_lo_u32_b32 v10, v3, 0
	s_delay_alu instid0(VALU_DEP_1)
	v_cmpx_eq_u32_e32 0, v10
	s_cbranch_execz .LBB19_20
; %bb.19:
	v_lshlrev_b32_e32 v9, 2, v9
	v_bcnt_u32_b32 v3, v3, 0
	ds_add_u32 v9, v3
.LBB19_20:
	s_or_b32 exec_lo, exec_lo, s1
	v_and_b32_e32 v3, 1, v8
	v_lshlrev_b32_e32 v9, 30, v8
	v_lshlrev_b32_e32 v10, 29, v8
	;; [unrolled: 1-line block ×4, first 2 shown]
	v_add_co_u32 v3, s0, v3, -1
	s_delay_alu instid0(VALU_DEP_1)
	v_cndmask_b32_e64 v11, 0, 1, s0
	v_not_b32_e32 v15, v9
	v_cmp_gt_i32_e64 s1, 0, v9
	v_not_b32_e32 v9, v10
	v_lshlrev_b32_e32 v14, 26, v8
	v_cmp_ne_u32_e64 s0, 0, v11
	v_ashrrev_i32_e32 v15, 31, v15
	v_lshlrev_b32_e32 v11, 25, v8
	v_ashrrev_i32_e32 v9, 31, v9
	s_delay_alu instid0(VALU_DEP_4)
	v_xor_b32_e32 v3, s0, v3
	v_cmp_gt_i32_e64 s0, 0, v10
	v_not_b32_e32 v10, v12
	v_xor_b32_e32 v15, s1, v15
	v_cmp_gt_i32_e64 s1, 0, v12
	v_and_b32_e32 v3, exec_lo, v3
	v_not_b32_e32 v12, v13
	v_ashrrev_i32_e32 v10, 31, v10
	v_xor_b32_e32 v9, s0, v9
	v_cmp_gt_i32_e64 s0, 0, v13
	v_and_b32_e32 v3, v3, v15
	v_not_b32_e32 v13, v14
	v_ashrrev_i32_e32 v12, 31, v12
	v_xor_b32_e32 v10, s1, v10
	v_cmp_gt_i32_e64 s1, 0, v14
	v_and_b32_e32 v3, v3, v9
	;; [unrolled: 5-line block ×3, first 2 shown]
	v_lshlrev_b32_e32 v10, 24, v8
	v_ashrrev_i32_e32 v9, 31, v9
	v_xor_b32_e32 v11, s1, v13
	s_delay_alu instid0(VALU_DEP_4) | instskip(NEXT) | instid1(VALU_DEP_4)
	v_and_b32_e32 v3, v3, v12
	v_not_b32_e32 v12, v10
	v_cmp_gt_i32_e64 s1, 0, v10
	v_xor_b32_e32 v9, s0, v9
	s_delay_alu instid0(VALU_DEP_4) | instskip(NEXT) | instid1(VALU_DEP_4)
	v_and_b32_e32 v3, v3, v11
	v_ashrrev_i32_e32 v10, 31, v12
	s_delay_alu instid0(VALU_DEP_2) | instskip(NEXT) | instid1(VALU_DEP_2)
	v_and_b32_e32 v3, v3, v9
	v_xor_b32_e32 v9, s1, v10
	s_mov_b32 s1, exec_lo
	s_delay_alu instid0(VALU_DEP_1) | instskip(NEXT) | instid1(VALU_DEP_1)
	v_and_b32_e32 v3, v3, v9
	v_mbcnt_lo_u32_b32 v9, v3, 0
	s_delay_alu instid0(VALU_DEP_1)
	v_cmpx_eq_u32_e32 0, v9
	s_cbranch_execz .LBB19_22
; %bb.21:
	v_lshlrev_b32_e32 v8, 2, v8
	v_bcnt_u32_b32 v3, v3, 0
	ds_add_u32 v8, v3
.LBB19_22:
	s_or_b32 exec_lo, exec_lo, s1
	v_and_b32_e32 v3, 1, v7
	v_lshlrev_b32_e32 v8, 30, v7
	v_lshlrev_b32_e32 v9, 29, v7
	v_lshlrev_b32_e32 v11, 28, v7
	v_lshlrev_b32_e32 v12, 27, v7
	v_add_co_u32 v3, s0, v3, -1
	s_delay_alu instid0(VALU_DEP_1)
	v_cndmask_b32_e64 v10, 0, 1, s0
	v_not_b32_e32 v14, v8
	v_cmp_gt_i32_e64 s1, 0, v8
	v_not_b32_e32 v8, v9
	v_lshlrev_b32_e32 v13, 26, v7
	v_cmp_ne_u32_e64 s0, 0, v10
	v_ashrrev_i32_e32 v14, 31, v14
	v_lshlrev_b32_e32 v10, 25, v7
	v_ashrrev_i32_e32 v8, 31, v8
	s_delay_alu instid0(VALU_DEP_4)
	v_xor_b32_e32 v3, s0, v3
	v_cmp_gt_i32_e64 s0, 0, v9
	v_not_b32_e32 v9, v11
	v_xor_b32_e32 v14, s1, v14
	v_cmp_gt_i32_e64 s1, 0, v11
	v_and_b32_e32 v3, exec_lo, v3
	v_not_b32_e32 v11, v12
	v_ashrrev_i32_e32 v9, 31, v9
	v_xor_b32_e32 v8, s0, v8
	v_cmp_gt_i32_e64 s0, 0, v12
	v_and_b32_e32 v3, v3, v14
	v_not_b32_e32 v12, v13
	v_ashrrev_i32_e32 v11, 31, v11
	v_xor_b32_e32 v9, s1, v9
	v_cmp_gt_i32_e64 s1, 0, v13
	v_and_b32_e32 v3, v3, v8
	;; [unrolled: 5-line block ×3, first 2 shown]
	v_lshlrev_b32_e32 v9, 24, v7
	v_ashrrev_i32_e32 v8, 31, v8
	v_xor_b32_e32 v10, s1, v12
	s_delay_alu instid0(VALU_DEP_4) | instskip(NEXT) | instid1(VALU_DEP_4)
	v_and_b32_e32 v3, v3, v11
	v_not_b32_e32 v11, v9
	v_cmp_gt_i32_e64 s1, 0, v9
	v_xor_b32_e32 v8, s0, v8
	s_delay_alu instid0(VALU_DEP_4) | instskip(NEXT) | instid1(VALU_DEP_4)
	v_and_b32_e32 v3, v3, v10
	v_ashrrev_i32_e32 v9, 31, v11
	s_delay_alu instid0(VALU_DEP_2) | instskip(NEXT) | instid1(VALU_DEP_2)
	v_and_b32_e32 v3, v3, v8
	v_xor_b32_e32 v8, s1, v9
	s_mov_b32 s1, exec_lo
	s_delay_alu instid0(VALU_DEP_1) | instskip(NEXT) | instid1(VALU_DEP_1)
	v_and_b32_e32 v3, v3, v8
	v_mbcnt_lo_u32_b32 v8, v3, 0
	s_delay_alu instid0(VALU_DEP_1)
	v_cmpx_eq_u32_e32 0, v8
	s_cbranch_execz .LBB19_24
; %bb.23:
	v_lshlrev_b32_e32 v7, 2, v7
	v_bcnt_u32_b32 v3, v3, 0
	ds_add_u32 v7, v3
.LBB19_24:
	s_or_b32 exec_lo, exec_lo, s1
	v_and_b32_e32 v3, 1, v6
	v_lshlrev_b32_e32 v7, 30, v6
	v_lshlrev_b32_e32 v8, 29, v6
	;; [unrolled: 1-line block ×4, first 2 shown]
	v_add_co_u32 v3, s0, v3, -1
	s_delay_alu instid0(VALU_DEP_1)
	v_cndmask_b32_e64 v9, 0, 1, s0
	v_not_b32_e32 v13, v7
	v_cmp_gt_i32_e64 s1, 0, v7
	v_not_b32_e32 v7, v8
	v_lshlrev_b32_e32 v12, 26, v6
	v_cmp_ne_u32_e64 s0, 0, v9
	v_ashrrev_i32_e32 v13, 31, v13
	v_lshlrev_b32_e32 v9, 25, v6
	v_ashrrev_i32_e32 v7, 31, v7
	s_delay_alu instid0(VALU_DEP_4)
	v_xor_b32_e32 v3, s0, v3
	v_cmp_gt_i32_e64 s0, 0, v8
	v_not_b32_e32 v8, v10
	v_xor_b32_e32 v13, s1, v13
	v_cmp_gt_i32_e64 s1, 0, v10
	v_and_b32_e32 v3, exec_lo, v3
	v_not_b32_e32 v10, v11
	v_ashrrev_i32_e32 v8, 31, v8
	v_xor_b32_e32 v7, s0, v7
	v_cmp_gt_i32_e64 s0, 0, v11
	v_and_b32_e32 v3, v3, v13
	v_not_b32_e32 v11, v12
	v_ashrrev_i32_e32 v10, 31, v10
	v_xor_b32_e32 v8, s1, v8
	v_cmp_gt_i32_e64 s1, 0, v12
	v_and_b32_e32 v3, v3, v7
	;; [unrolled: 5-line block ×3, first 2 shown]
	v_lshlrev_b32_e32 v8, 24, v6
	v_ashrrev_i32_e32 v7, 31, v7
	v_xor_b32_e32 v9, s1, v11
	s_delay_alu instid0(VALU_DEP_4) | instskip(NEXT) | instid1(VALU_DEP_4)
	v_and_b32_e32 v3, v3, v10
	v_not_b32_e32 v10, v8
	v_cmp_gt_i32_e64 s1, 0, v8
	v_xor_b32_e32 v7, s0, v7
	s_delay_alu instid0(VALU_DEP_4) | instskip(NEXT) | instid1(VALU_DEP_4)
	v_and_b32_e32 v3, v3, v9
	v_ashrrev_i32_e32 v8, 31, v10
	s_delay_alu instid0(VALU_DEP_2) | instskip(NEXT) | instid1(VALU_DEP_2)
	v_and_b32_e32 v3, v3, v7
	v_xor_b32_e32 v7, s1, v8
	s_mov_b32 s1, exec_lo
	s_delay_alu instid0(VALU_DEP_1) | instskip(NEXT) | instid1(VALU_DEP_1)
	v_and_b32_e32 v3, v3, v7
	v_mbcnt_lo_u32_b32 v7, v3, 0
	s_delay_alu instid0(VALU_DEP_1)
	v_cmpx_eq_u32_e32 0, v7
	s_cbranch_execz .LBB19_26
; %bb.25:
	v_lshlrev_b32_e32 v6, 2, v6
	v_bcnt_u32_b32 v3, v3, 0
	ds_add_u32 v6, v3
.LBB19_26:
	s_or_b32 exec_lo, exec_lo, s1
	v_and_b32_e32 v3, 1, v5
	v_lshlrev_b32_e32 v6, 30, v5
	v_lshlrev_b32_e32 v7, 29, v5
	;; [unrolled: 1-line block ×4, first 2 shown]
	v_add_co_u32 v3, s0, v3, -1
	s_delay_alu instid0(VALU_DEP_1)
	v_cndmask_b32_e64 v8, 0, 1, s0
	v_not_b32_e32 v12, v6
	v_cmp_gt_i32_e64 s1, 0, v6
	v_not_b32_e32 v6, v7
	v_lshlrev_b32_e32 v11, 26, v5
	v_cmp_ne_u32_e64 s0, 0, v8
	v_ashrrev_i32_e32 v12, 31, v12
	v_lshlrev_b32_e32 v8, 25, v5
	v_ashrrev_i32_e32 v6, 31, v6
	s_delay_alu instid0(VALU_DEP_4)
	v_xor_b32_e32 v3, s0, v3
	v_cmp_gt_i32_e64 s0, 0, v7
	v_not_b32_e32 v7, v9
	v_xor_b32_e32 v12, s1, v12
	v_cmp_gt_i32_e64 s1, 0, v9
	v_and_b32_e32 v3, exec_lo, v3
	v_not_b32_e32 v9, v10
	v_ashrrev_i32_e32 v7, 31, v7
	v_xor_b32_e32 v6, s0, v6
	v_cmp_gt_i32_e64 s0, 0, v10
	v_and_b32_e32 v3, v3, v12
	v_not_b32_e32 v10, v11
	v_ashrrev_i32_e32 v9, 31, v9
	v_xor_b32_e32 v7, s1, v7
	v_cmp_gt_i32_e64 s1, 0, v11
	v_and_b32_e32 v3, v3, v6
	;; [unrolled: 5-line block ×3, first 2 shown]
	v_lshlrev_b32_e32 v7, 24, v5
	v_ashrrev_i32_e32 v6, 31, v6
	v_xor_b32_e32 v8, s1, v10
	s_delay_alu instid0(VALU_DEP_4) | instskip(NEXT) | instid1(VALU_DEP_4)
	v_and_b32_e32 v3, v3, v9
	v_not_b32_e32 v9, v7
	v_cmp_gt_i32_e64 s1, 0, v7
	v_xor_b32_e32 v6, s0, v6
	s_delay_alu instid0(VALU_DEP_4) | instskip(NEXT) | instid1(VALU_DEP_4)
	v_and_b32_e32 v3, v3, v8
	v_ashrrev_i32_e32 v7, 31, v9
	s_delay_alu instid0(VALU_DEP_2) | instskip(NEXT) | instid1(VALU_DEP_2)
	v_and_b32_e32 v3, v3, v6
	v_xor_b32_e32 v6, s1, v7
	s_mov_b32 s1, exec_lo
	s_delay_alu instid0(VALU_DEP_1) | instskip(NEXT) | instid1(VALU_DEP_1)
	v_and_b32_e32 v3, v3, v6
	v_mbcnt_lo_u32_b32 v6, v3, 0
	s_delay_alu instid0(VALU_DEP_1)
	v_cmpx_eq_u32_e32 0, v6
	s_cbranch_execz .LBB19_28
; %bb.27:
	v_lshlrev_b32_e32 v5, 2, v5
	v_bcnt_u32_b32 v3, v3, 0
	ds_add_u32 v5, v3
.LBB19_28:
	s_or_b32 exec_lo, exec_lo, s1
	v_and_b32_e32 v3, 1, v4
	v_lshlrev_b32_e32 v5, 30, v4
	v_lshlrev_b32_e32 v6, 29, v4
	v_lshlrev_b32_e32 v8, 28, v4
	v_lshlrev_b32_e32 v9, 27, v4
	v_add_co_u32 v3, s0, v3, -1
	s_delay_alu instid0(VALU_DEP_1)
	v_cndmask_b32_e64 v7, 0, 1, s0
	v_not_b32_e32 v11, v5
	v_cmp_gt_i32_e64 s1, 0, v5
	v_not_b32_e32 v5, v6
	v_lshlrev_b32_e32 v10, 26, v4
	v_cmp_ne_u32_e64 s0, 0, v7
	v_ashrrev_i32_e32 v11, 31, v11
	v_lshlrev_b32_e32 v7, 25, v4
	v_ashrrev_i32_e32 v5, 31, v5
	s_delay_alu instid0(VALU_DEP_4)
	v_xor_b32_e32 v3, s0, v3
	v_cmp_gt_i32_e64 s0, 0, v6
	v_not_b32_e32 v6, v8
	v_xor_b32_e32 v11, s1, v11
	v_cmp_gt_i32_e64 s1, 0, v8
	v_and_b32_e32 v3, exec_lo, v3
	v_not_b32_e32 v8, v9
	v_ashrrev_i32_e32 v6, 31, v6
	v_xor_b32_e32 v5, s0, v5
	v_cmp_gt_i32_e64 s0, 0, v9
	v_and_b32_e32 v3, v3, v11
	v_not_b32_e32 v9, v10
	v_ashrrev_i32_e32 v8, 31, v8
	v_xor_b32_e32 v6, s1, v6
	v_cmp_gt_i32_e64 s1, 0, v10
	v_and_b32_e32 v3, v3, v5
	;; [unrolled: 5-line block ×3, first 2 shown]
	v_lshlrev_b32_e32 v6, 24, v4
	v_ashrrev_i32_e32 v5, 31, v5
	v_xor_b32_e32 v7, s1, v9
	s_delay_alu instid0(VALU_DEP_4) | instskip(NEXT) | instid1(VALU_DEP_4)
	v_and_b32_e32 v3, v3, v8
	v_not_b32_e32 v8, v6
	v_cmp_gt_i32_e64 s1, 0, v6
	v_xor_b32_e32 v5, s0, v5
	s_delay_alu instid0(VALU_DEP_4) | instskip(NEXT) | instid1(VALU_DEP_4)
	v_and_b32_e32 v3, v3, v7
	v_ashrrev_i32_e32 v6, 31, v8
	s_delay_alu instid0(VALU_DEP_2) | instskip(NEXT) | instid1(VALU_DEP_2)
	v_and_b32_e32 v3, v3, v5
	v_xor_b32_e32 v5, s1, v6
	s_mov_b32 s1, exec_lo
	s_delay_alu instid0(VALU_DEP_1) | instskip(NEXT) | instid1(VALU_DEP_1)
	v_and_b32_e32 v3, v3, v5
	v_mbcnt_lo_u32_b32 v5, v3, 0
	s_delay_alu instid0(VALU_DEP_1)
	v_cmpx_eq_u32_e32 0, v5
	s_cbranch_execz .LBB19_30
; %bb.29:
	v_lshlrev_b32_e32 v4, 2, v4
	v_bcnt_u32_b32 v3, v3, 0
	ds_add_u32 v4, v3
.LBB19_30:
	s_or_b32 exec_lo, exec_lo, s1
	v_and_b32_e32 v3, 1, v2
	v_lshlrev_b32_e32 v4, 30, v2
	v_lshlrev_b32_e32 v5, 29, v2
	;; [unrolled: 1-line block ×4, first 2 shown]
	v_add_co_u32 v3, s0, v3, -1
	s_delay_alu instid0(VALU_DEP_1)
	v_cndmask_b32_e64 v6, 0, 1, s0
	v_not_b32_e32 v10, v4
	v_cmp_gt_i32_e64 s1, 0, v4
	v_not_b32_e32 v4, v5
	v_lshlrev_b32_e32 v9, 26, v2
	v_cmp_ne_u32_e64 s0, 0, v6
	v_ashrrev_i32_e32 v10, 31, v10
	v_lshlrev_b32_e32 v6, 25, v2
	v_ashrrev_i32_e32 v4, 31, v4
	s_delay_alu instid0(VALU_DEP_4)
	v_xor_b32_e32 v3, s0, v3
	v_cmp_gt_i32_e64 s0, 0, v5
	v_not_b32_e32 v5, v7
	v_xor_b32_e32 v10, s1, v10
	v_cmp_gt_i32_e64 s1, 0, v7
	v_and_b32_e32 v3, exec_lo, v3
	v_not_b32_e32 v7, v8
	v_ashrrev_i32_e32 v5, 31, v5
	v_xor_b32_e32 v4, s0, v4
	v_cmp_gt_i32_e64 s0, 0, v8
	v_and_b32_e32 v3, v3, v10
	v_not_b32_e32 v8, v9
	v_ashrrev_i32_e32 v7, 31, v7
	v_xor_b32_e32 v5, s1, v5
	v_cmp_gt_i32_e64 s1, 0, v9
	v_and_b32_e32 v3, v3, v4
	;; [unrolled: 5-line block ×3, first 2 shown]
	v_lshlrev_b32_e32 v5, 24, v2
	v_ashrrev_i32_e32 v4, 31, v4
	v_xor_b32_e32 v6, s1, v8
	s_delay_alu instid0(VALU_DEP_4) | instskip(NEXT) | instid1(VALU_DEP_4)
	v_and_b32_e32 v3, v3, v7
	v_not_b32_e32 v7, v5
	v_cmp_gt_i32_e64 s1, 0, v5
	v_xor_b32_e32 v4, s0, v4
	s_delay_alu instid0(VALU_DEP_4) | instskip(NEXT) | instid1(VALU_DEP_4)
	v_and_b32_e32 v3, v3, v6
	v_ashrrev_i32_e32 v5, 31, v7
	s_delay_alu instid0(VALU_DEP_2) | instskip(NEXT) | instid1(VALU_DEP_2)
	v_and_b32_e32 v3, v3, v4
	v_xor_b32_e32 v4, s1, v5
	s_mov_b32 s1, exec_lo
	s_delay_alu instid0(VALU_DEP_1) | instskip(NEXT) | instid1(VALU_DEP_1)
	v_and_b32_e32 v3, v3, v4
	v_mbcnt_lo_u32_b32 v4, v3, 0
	s_delay_alu instid0(VALU_DEP_1)
	v_cmpx_eq_u32_e32 0, v4
	s_cbranch_execz .LBB19_32
; %bb.31:
	v_lshlrev_b32_e32 v2, 2, v2
	v_bcnt_u32_b32 v3, v3, 0
	ds_add_u32 v2, v3
.LBB19_32:
	s_or_b32 exec_lo, exec_lo, s1
	s_waitcnt lgkmcnt(0)
	s_barrier
	buffer_gl0_inv
	s_barrier
	buffer_gl0_inv
	s_and_saveexec_b32 s0, vcc_lo
	s_cbranch_execz .LBB19_34
; %bb.33:
	ds_load_b32 v3, v0
	v_mov_b32_e32 v2, 0
	s_delay_alu instid0(VALU_DEP_1) | instskip(NEXT) | instid1(VALU_DEP_1)
	v_lshlrev_b64 v[0:1], 2, v[1:2]
	v_add_co_u32 v0, vcc_lo, s2, v0
	s_delay_alu instid0(VALU_DEP_2)
	v_add_co_ci_u32_e32 v1, vcc_lo, s3, v1, vcc_lo
	s_waitcnt lgkmcnt(0)
	global_store_b32 v[0:1], v3, off
.LBB19_34:
	s_nop 0
	s_sendmsg sendmsg(MSG_DEALLOC_VGPRS)
	s_endpgm
	.section	.rodata,"a",@progbits
	.p2align	6, 0x0
	.amdhsa_kernel _Z16histogram_kernelILj255ELj15ELj255ELN6hipcub23BlockHistogramAlgorithmE0EjEvPT3_S3_
		.amdhsa_group_segment_fixed_size 1020
		.amdhsa_private_segment_fixed_size 0
		.amdhsa_kernarg_size 16
		.amdhsa_user_sgpr_count 15
		.amdhsa_user_sgpr_dispatch_ptr 0
		.amdhsa_user_sgpr_queue_ptr 0
		.amdhsa_user_sgpr_kernarg_segment_ptr 1
		.amdhsa_user_sgpr_dispatch_id 0
		.amdhsa_user_sgpr_private_segment_size 0
		.amdhsa_wavefront_size32 1
		.amdhsa_uses_dynamic_stack 0
		.amdhsa_enable_private_segment 0
		.amdhsa_system_sgpr_workgroup_id_x 1
		.amdhsa_system_sgpr_workgroup_id_y 0
		.amdhsa_system_sgpr_workgroup_id_z 0
		.amdhsa_system_sgpr_workgroup_info 0
		.amdhsa_system_vgpr_workitem_id 0
		.amdhsa_next_free_vgpr 28
		.amdhsa_next_free_sgpr 16
		.amdhsa_reserve_vcc 1
		.amdhsa_float_round_mode_32 0
		.amdhsa_float_round_mode_16_64 0
		.amdhsa_float_denorm_mode_32 3
		.amdhsa_float_denorm_mode_16_64 3
		.amdhsa_dx10_clamp 1
		.amdhsa_ieee_mode 1
		.amdhsa_fp16_overflow 0
		.amdhsa_workgroup_processor_mode 1
		.amdhsa_memory_ordered 1
		.amdhsa_forward_progress 0
		.amdhsa_shared_vgpr_count 0
		.amdhsa_exception_fp_ieee_invalid_op 0
		.amdhsa_exception_fp_denorm_src 0
		.amdhsa_exception_fp_ieee_div_zero 0
		.amdhsa_exception_fp_ieee_overflow 0
		.amdhsa_exception_fp_ieee_underflow 0
		.amdhsa_exception_fp_ieee_inexact 0
		.amdhsa_exception_int_div_zero 0
	.end_amdhsa_kernel
	.section	.text._Z16histogram_kernelILj255ELj15ELj255ELN6hipcub23BlockHistogramAlgorithmE0EjEvPT3_S3_,"axG",@progbits,_Z16histogram_kernelILj255ELj15ELj255ELN6hipcub23BlockHistogramAlgorithmE0EjEvPT3_S3_,comdat
.Lfunc_end19:
	.size	_Z16histogram_kernelILj255ELj15ELj255ELN6hipcub23BlockHistogramAlgorithmE0EjEvPT3_S3_, .Lfunc_end19-_Z16histogram_kernelILj255ELj15ELj255ELN6hipcub23BlockHistogramAlgorithmE0EjEvPT3_S3_
                                        ; -- End function
	.section	.AMDGPU.csdata,"",@progbits
; Kernel info:
; codeLenInByte = 5296
; NumSgprs: 18
; NumVgprs: 28
; ScratchSize: 0
; MemoryBound: 0
; FloatMode: 240
; IeeeMode: 1
; LDSByteSize: 1020 bytes/workgroup (compile time only)
; SGPRBlocks: 2
; VGPRBlocks: 3
; NumSGPRsForWavesPerEU: 18
; NumVGPRsForWavesPerEU: 28
; Occupancy: 16
; WaveLimiterHint : 0
; COMPUTE_PGM_RSRC2:SCRATCH_EN: 0
; COMPUTE_PGM_RSRC2:USER_SGPR: 15
; COMPUTE_PGM_RSRC2:TRAP_HANDLER: 0
; COMPUTE_PGM_RSRC2:TGID_X_EN: 1
; COMPUTE_PGM_RSRC2:TGID_Y_EN: 0
; COMPUTE_PGM_RSRC2:TGID_Z_EN: 0
; COMPUTE_PGM_RSRC2:TIDIG_COMP_CNT: 0
	.section	.text._Z16histogram_kernelILj162ELj7ELj162ELN6hipcub23BlockHistogramAlgorithmE0EjEvPT3_S3_,"axG",@progbits,_Z16histogram_kernelILj162ELj7ELj162ELN6hipcub23BlockHistogramAlgorithmE0EjEvPT3_S3_,comdat
	.protected	_Z16histogram_kernelILj162ELj7ELj162ELN6hipcub23BlockHistogramAlgorithmE0EjEvPT3_S3_ ; -- Begin function _Z16histogram_kernelILj162ELj7ELj162ELN6hipcub23BlockHistogramAlgorithmE0EjEvPT3_S3_
	.globl	_Z16histogram_kernelILj162ELj7ELj162ELN6hipcub23BlockHistogramAlgorithmE0EjEvPT3_S3_
	.p2align	8
	.type	_Z16histogram_kernelILj162ELj7ELj162ELN6hipcub23BlockHistogramAlgorithmE0EjEvPT3_S3_,@function
_Z16histogram_kernelILj162ELj7ELj162ELN6hipcub23BlockHistogramAlgorithmE0EjEvPT3_S3_: ; @_Z16histogram_kernelILj162ELj7ELj162ELN6hipcub23BlockHistogramAlgorithmE0EjEvPT3_S3_
; %bb.0:
	v_mad_u64_u32 v[1:2], null, 0xa2, s15, v[0:1]
	s_load_b128 s[0:3], s[0:1], 0x0
	s_delay_alu instid0(VALU_DEP_1) | instskip(NEXT) | instid1(VALU_DEP_1)
	v_mul_lo_u32 v2, v1, 7
	v_dual_mov_b32 v3, 0 :: v_dual_add_nc_u32 v4, 1, v2
	s_delay_alu instid0(VALU_DEP_1) | instskip(SKIP_2) | instid1(VALU_DEP_3)
	v_dual_mov_b32 v5, v3 :: v_dual_add_nc_u32 v6, 2, v2
	v_lshlrev_b64 v[12:13], 2, v[2:3]
	v_dual_mov_b32 v7, v3 :: v_dual_add_nc_u32 v8, 3, v2
	v_lshlrev_b64 v[4:5], 2, v[4:5]
	v_dual_mov_b32 v9, v3 :: v_dual_add_nc_u32 v10, 4, v2
	s_delay_alu instid0(VALU_DEP_3)
	v_lshlrev_b64 v[6:7], 2, v[6:7]
	s_waitcnt lgkmcnt(0)
	v_add_co_u32 v12, vcc_lo, s0, v12
	v_add_co_ci_u32_e32 v13, vcc_lo, s1, v13, vcc_lo
	v_dual_mov_b32 v11, v3 :: v_dual_add_nc_u32 v14, 5, v2
	v_lshlrev_b64 v[8:9], 2, v[8:9]
	v_add_co_u32 v4, vcc_lo, s0, v4
	v_add_co_ci_u32_e32 v5, vcc_lo, s1, v5, vcc_lo
	v_add_co_u32 v6, vcc_lo, s0, v6
	v_dual_mov_b32 v15, v3 :: v_dual_add_nc_u32 v2, 6, v2
	v_lshlrev_b64 v[10:11], 2, v[10:11]
	v_add_co_ci_u32_e32 v7, vcc_lo, s1, v7, vcc_lo
	v_add_co_u32 v16, vcc_lo, s0, v8
	v_add_co_ci_u32_e32 v17, vcc_lo, s1, v9, vcc_lo
	v_lshlrev_b64 v[8:9], 2, v[14:15]
	v_add_co_u32 v10, vcc_lo, s0, v10
	v_lshlrev_b64 v[14:15], 2, v[2:3]
	v_add_co_ci_u32_e32 v11, vcc_lo, s1, v11, vcc_lo
	s_delay_alu instid0(VALU_DEP_4) | instskip(SKIP_1) | instid1(VALU_DEP_4)
	v_add_co_u32 v18, vcc_lo, s0, v8
	v_add_co_ci_u32_e32 v19, vcc_lo, s1, v9, vcc_lo
	v_add_co_u32 v14, vcc_lo, s0, v14
	v_add_co_ci_u32_e32 v15, vcc_lo, s1, v15, vcc_lo
	s_clause 0x6
	global_load_b32 v9, v[12:13], off
	global_load_b32 v8, v[4:5], off
	;; [unrolled: 1-line block ×7, first 2 shown]
	v_cmp_gt_u32_e32 vcc_lo, 0xa2, v0
	v_lshlrev_b32_e32 v0, 2, v0
	s_and_saveexec_b32 s0, vcc_lo
	s_cbranch_execz .LBB20_2
; %bb.1:
	ds_store_b32 v0, v3
.LBB20_2:
	s_or_b32 exec_lo, exec_lo, s0
	s_waitcnt vmcnt(6)
	v_and_b32_e32 v3, 1, v9
	v_lshlrev_b32_e32 v10, 30, v9
	v_lshlrev_b32_e32 v11, 29, v9
	;; [unrolled: 1-line block ×4, first 2 shown]
	v_add_co_u32 v3, s0, v3, -1
	s_delay_alu instid0(VALU_DEP_1)
	v_cndmask_b32_e64 v12, 0, 1, s0
	v_not_b32_e32 v16, v10
	v_cmp_gt_i32_e64 s1, 0, v10
	v_not_b32_e32 v10, v11
	v_lshlrev_b32_e32 v15, 26, v9
	v_cmp_ne_u32_e64 s0, 0, v12
	v_ashrrev_i32_e32 v16, 31, v16
	v_lshlrev_b32_e32 v12, 25, v9
	v_ashrrev_i32_e32 v10, 31, v10
	s_waitcnt vmcnt(0) lgkmcnt(0)
	v_xor_b32_e32 v3, s0, v3
	v_cmp_gt_i32_e64 s0, 0, v11
	v_not_b32_e32 v11, v13
	v_xor_b32_e32 v16, s1, v16
	v_cmp_gt_i32_e64 s1, 0, v13
	v_and_b32_e32 v3, exec_lo, v3
	v_not_b32_e32 v13, v14
	v_ashrrev_i32_e32 v11, 31, v11
	v_xor_b32_e32 v10, s0, v10
	v_cmp_gt_i32_e64 s0, 0, v14
	v_and_b32_e32 v3, v3, v16
	v_not_b32_e32 v14, v15
	v_ashrrev_i32_e32 v13, 31, v13
	v_xor_b32_e32 v11, s1, v11
	v_cmp_gt_i32_e64 s1, 0, v15
	v_and_b32_e32 v3, v3, v10
	;; [unrolled: 5-line block ×3, first 2 shown]
	v_lshlrev_b32_e32 v11, 24, v9
	v_ashrrev_i32_e32 v10, 31, v10
	v_xor_b32_e32 v12, s1, v14
	s_barrier
	v_and_b32_e32 v3, v3, v13
	v_not_b32_e32 v13, v11
	v_cmp_gt_i32_e64 s1, 0, v11
	v_xor_b32_e32 v10, s0, v10
	buffer_gl0_inv
	v_and_b32_e32 v3, v3, v12
	v_ashrrev_i32_e32 v11, 31, v13
	s_delay_alu instid0(VALU_DEP_2) | instskip(NEXT) | instid1(VALU_DEP_2)
	v_and_b32_e32 v3, v3, v10
	v_xor_b32_e32 v10, s1, v11
	s_mov_b32 s1, exec_lo
	s_delay_alu instid0(VALU_DEP_1) | instskip(NEXT) | instid1(VALU_DEP_1)
	v_and_b32_e32 v3, v3, v10
	v_mbcnt_lo_u32_b32 v10, v3, 0
	s_delay_alu instid0(VALU_DEP_1)
	v_cmpx_eq_u32_e32 0, v10
	s_cbranch_execz .LBB20_4
; %bb.3:
	v_lshlrev_b32_e32 v9, 2, v9
	v_bcnt_u32_b32 v3, v3, 0
	ds_add_u32 v9, v3
.LBB20_4:
	s_or_b32 exec_lo, exec_lo, s1
	v_and_b32_e32 v3, 1, v8
	v_lshlrev_b32_e32 v9, 30, v8
	v_lshlrev_b32_e32 v10, 29, v8
	;; [unrolled: 1-line block ×4, first 2 shown]
	v_add_co_u32 v3, s0, v3, -1
	s_delay_alu instid0(VALU_DEP_1)
	v_cndmask_b32_e64 v11, 0, 1, s0
	v_not_b32_e32 v15, v9
	v_cmp_gt_i32_e64 s1, 0, v9
	v_not_b32_e32 v9, v10
	v_lshlrev_b32_e32 v14, 26, v8
	v_cmp_ne_u32_e64 s0, 0, v11
	v_ashrrev_i32_e32 v15, 31, v15
	v_lshlrev_b32_e32 v11, 25, v8
	v_ashrrev_i32_e32 v9, 31, v9
	s_delay_alu instid0(VALU_DEP_4)
	v_xor_b32_e32 v3, s0, v3
	v_cmp_gt_i32_e64 s0, 0, v10
	v_not_b32_e32 v10, v12
	v_xor_b32_e32 v15, s1, v15
	v_cmp_gt_i32_e64 s1, 0, v12
	v_and_b32_e32 v3, exec_lo, v3
	v_not_b32_e32 v12, v13
	v_ashrrev_i32_e32 v10, 31, v10
	v_xor_b32_e32 v9, s0, v9
	v_cmp_gt_i32_e64 s0, 0, v13
	v_and_b32_e32 v3, v3, v15
	v_not_b32_e32 v13, v14
	v_ashrrev_i32_e32 v12, 31, v12
	v_xor_b32_e32 v10, s1, v10
	v_cmp_gt_i32_e64 s1, 0, v14
	v_and_b32_e32 v3, v3, v9
	;; [unrolled: 5-line block ×3, first 2 shown]
	v_lshlrev_b32_e32 v10, 24, v8
	v_ashrrev_i32_e32 v9, 31, v9
	v_xor_b32_e32 v11, s1, v13
	s_delay_alu instid0(VALU_DEP_4) | instskip(NEXT) | instid1(VALU_DEP_4)
	v_and_b32_e32 v3, v3, v12
	v_not_b32_e32 v12, v10
	v_cmp_gt_i32_e64 s1, 0, v10
	v_xor_b32_e32 v9, s0, v9
	s_delay_alu instid0(VALU_DEP_4) | instskip(NEXT) | instid1(VALU_DEP_4)
	v_and_b32_e32 v3, v3, v11
	v_ashrrev_i32_e32 v10, 31, v12
	s_delay_alu instid0(VALU_DEP_2) | instskip(NEXT) | instid1(VALU_DEP_2)
	v_and_b32_e32 v3, v3, v9
	v_xor_b32_e32 v9, s1, v10
	s_mov_b32 s1, exec_lo
	s_delay_alu instid0(VALU_DEP_1) | instskip(NEXT) | instid1(VALU_DEP_1)
	v_and_b32_e32 v3, v3, v9
	v_mbcnt_lo_u32_b32 v9, v3, 0
	s_delay_alu instid0(VALU_DEP_1)
	v_cmpx_eq_u32_e32 0, v9
	s_cbranch_execz .LBB20_6
; %bb.5:
	v_lshlrev_b32_e32 v8, 2, v8
	v_bcnt_u32_b32 v3, v3, 0
	ds_add_u32 v8, v3
.LBB20_6:
	s_or_b32 exec_lo, exec_lo, s1
	v_and_b32_e32 v3, 1, v7
	v_lshlrev_b32_e32 v8, 30, v7
	v_lshlrev_b32_e32 v9, 29, v7
	v_lshlrev_b32_e32 v11, 28, v7
	v_lshlrev_b32_e32 v12, 27, v7
	v_add_co_u32 v3, s0, v3, -1
	s_delay_alu instid0(VALU_DEP_1)
	v_cndmask_b32_e64 v10, 0, 1, s0
	v_not_b32_e32 v14, v8
	v_cmp_gt_i32_e64 s1, 0, v8
	v_not_b32_e32 v8, v9
	v_lshlrev_b32_e32 v13, 26, v7
	v_cmp_ne_u32_e64 s0, 0, v10
	v_ashrrev_i32_e32 v14, 31, v14
	v_lshlrev_b32_e32 v10, 25, v7
	v_ashrrev_i32_e32 v8, 31, v8
	s_delay_alu instid0(VALU_DEP_4)
	v_xor_b32_e32 v3, s0, v3
	v_cmp_gt_i32_e64 s0, 0, v9
	v_not_b32_e32 v9, v11
	v_xor_b32_e32 v14, s1, v14
	v_cmp_gt_i32_e64 s1, 0, v11
	v_and_b32_e32 v3, exec_lo, v3
	v_not_b32_e32 v11, v12
	v_ashrrev_i32_e32 v9, 31, v9
	v_xor_b32_e32 v8, s0, v8
	v_cmp_gt_i32_e64 s0, 0, v12
	v_and_b32_e32 v3, v3, v14
	v_not_b32_e32 v12, v13
	v_ashrrev_i32_e32 v11, 31, v11
	v_xor_b32_e32 v9, s1, v9
	v_cmp_gt_i32_e64 s1, 0, v13
	v_and_b32_e32 v3, v3, v8
	;; [unrolled: 5-line block ×3, first 2 shown]
	v_lshlrev_b32_e32 v9, 24, v7
	v_ashrrev_i32_e32 v8, 31, v8
	v_xor_b32_e32 v10, s1, v12
	s_delay_alu instid0(VALU_DEP_4) | instskip(NEXT) | instid1(VALU_DEP_4)
	v_and_b32_e32 v3, v3, v11
	v_not_b32_e32 v11, v9
	v_cmp_gt_i32_e64 s1, 0, v9
	v_xor_b32_e32 v8, s0, v8
	s_delay_alu instid0(VALU_DEP_4) | instskip(NEXT) | instid1(VALU_DEP_4)
	v_and_b32_e32 v3, v3, v10
	v_ashrrev_i32_e32 v9, 31, v11
	s_delay_alu instid0(VALU_DEP_2) | instskip(NEXT) | instid1(VALU_DEP_2)
	v_and_b32_e32 v3, v3, v8
	v_xor_b32_e32 v8, s1, v9
	s_mov_b32 s1, exec_lo
	s_delay_alu instid0(VALU_DEP_1) | instskip(NEXT) | instid1(VALU_DEP_1)
	v_and_b32_e32 v3, v3, v8
	v_mbcnt_lo_u32_b32 v8, v3, 0
	s_delay_alu instid0(VALU_DEP_1)
	v_cmpx_eq_u32_e32 0, v8
	s_cbranch_execz .LBB20_8
; %bb.7:
	v_lshlrev_b32_e32 v7, 2, v7
	v_bcnt_u32_b32 v3, v3, 0
	ds_add_u32 v7, v3
.LBB20_8:
	s_or_b32 exec_lo, exec_lo, s1
	v_and_b32_e32 v3, 1, v6
	v_lshlrev_b32_e32 v7, 30, v6
	v_lshlrev_b32_e32 v8, 29, v6
	v_lshlrev_b32_e32 v10, 28, v6
	v_lshlrev_b32_e32 v11, 27, v6
	v_add_co_u32 v3, s0, v3, -1
	s_delay_alu instid0(VALU_DEP_1)
	v_cndmask_b32_e64 v9, 0, 1, s0
	v_not_b32_e32 v13, v7
	v_cmp_gt_i32_e64 s1, 0, v7
	v_not_b32_e32 v7, v8
	v_lshlrev_b32_e32 v12, 26, v6
	v_cmp_ne_u32_e64 s0, 0, v9
	v_ashrrev_i32_e32 v13, 31, v13
	v_lshlrev_b32_e32 v9, 25, v6
	v_ashrrev_i32_e32 v7, 31, v7
	s_delay_alu instid0(VALU_DEP_4)
	v_xor_b32_e32 v3, s0, v3
	v_cmp_gt_i32_e64 s0, 0, v8
	v_not_b32_e32 v8, v10
	v_xor_b32_e32 v13, s1, v13
	v_cmp_gt_i32_e64 s1, 0, v10
	v_and_b32_e32 v3, exec_lo, v3
	v_not_b32_e32 v10, v11
	v_ashrrev_i32_e32 v8, 31, v8
	v_xor_b32_e32 v7, s0, v7
	v_cmp_gt_i32_e64 s0, 0, v11
	v_and_b32_e32 v3, v3, v13
	v_not_b32_e32 v11, v12
	v_ashrrev_i32_e32 v10, 31, v10
	v_xor_b32_e32 v8, s1, v8
	v_cmp_gt_i32_e64 s1, 0, v12
	v_and_b32_e32 v3, v3, v7
	;; [unrolled: 5-line block ×3, first 2 shown]
	v_lshlrev_b32_e32 v8, 24, v6
	v_ashrrev_i32_e32 v7, 31, v7
	v_xor_b32_e32 v9, s1, v11
	s_delay_alu instid0(VALU_DEP_4) | instskip(NEXT) | instid1(VALU_DEP_4)
	v_and_b32_e32 v3, v3, v10
	v_not_b32_e32 v10, v8
	v_cmp_gt_i32_e64 s1, 0, v8
	v_xor_b32_e32 v7, s0, v7
	s_delay_alu instid0(VALU_DEP_4) | instskip(NEXT) | instid1(VALU_DEP_4)
	v_and_b32_e32 v3, v3, v9
	v_ashrrev_i32_e32 v8, 31, v10
	s_delay_alu instid0(VALU_DEP_2) | instskip(NEXT) | instid1(VALU_DEP_2)
	v_and_b32_e32 v3, v3, v7
	v_xor_b32_e32 v7, s1, v8
	s_mov_b32 s1, exec_lo
	s_delay_alu instid0(VALU_DEP_1) | instskip(NEXT) | instid1(VALU_DEP_1)
	v_and_b32_e32 v3, v3, v7
	v_mbcnt_lo_u32_b32 v7, v3, 0
	s_delay_alu instid0(VALU_DEP_1)
	v_cmpx_eq_u32_e32 0, v7
	s_cbranch_execz .LBB20_10
; %bb.9:
	v_lshlrev_b32_e32 v6, 2, v6
	v_bcnt_u32_b32 v3, v3, 0
	ds_add_u32 v6, v3
.LBB20_10:
	s_or_b32 exec_lo, exec_lo, s1
	v_and_b32_e32 v3, 1, v5
	v_lshlrev_b32_e32 v6, 30, v5
	v_lshlrev_b32_e32 v7, 29, v5
	;; [unrolled: 1-line block ×4, first 2 shown]
	v_add_co_u32 v3, s0, v3, -1
	s_delay_alu instid0(VALU_DEP_1)
	v_cndmask_b32_e64 v8, 0, 1, s0
	v_not_b32_e32 v12, v6
	v_cmp_gt_i32_e64 s1, 0, v6
	v_not_b32_e32 v6, v7
	v_lshlrev_b32_e32 v11, 26, v5
	v_cmp_ne_u32_e64 s0, 0, v8
	v_ashrrev_i32_e32 v12, 31, v12
	v_lshlrev_b32_e32 v8, 25, v5
	v_ashrrev_i32_e32 v6, 31, v6
	s_delay_alu instid0(VALU_DEP_4)
	v_xor_b32_e32 v3, s0, v3
	v_cmp_gt_i32_e64 s0, 0, v7
	v_not_b32_e32 v7, v9
	v_xor_b32_e32 v12, s1, v12
	v_cmp_gt_i32_e64 s1, 0, v9
	v_and_b32_e32 v3, exec_lo, v3
	v_not_b32_e32 v9, v10
	v_ashrrev_i32_e32 v7, 31, v7
	v_xor_b32_e32 v6, s0, v6
	v_cmp_gt_i32_e64 s0, 0, v10
	v_and_b32_e32 v3, v3, v12
	v_not_b32_e32 v10, v11
	v_ashrrev_i32_e32 v9, 31, v9
	v_xor_b32_e32 v7, s1, v7
	v_cmp_gt_i32_e64 s1, 0, v11
	v_and_b32_e32 v3, v3, v6
	v_not_b32_e32 v6, v8
	v_ashrrev_i32_e32 v10, 31, v10
	v_xor_b32_e32 v9, s0, v9
	v_cmp_gt_i32_e64 s0, 0, v8
	v_and_b32_e32 v3, v3, v7
	v_lshlrev_b32_e32 v7, 24, v5
	v_ashrrev_i32_e32 v6, 31, v6
	v_xor_b32_e32 v8, s1, v10
	s_delay_alu instid0(VALU_DEP_4) | instskip(NEXT) | instid1(VALU_DEP_4)
	v_and_b32_e32 v3, v3, v9
	v_not_b32_e32 v9, v7
	v_cmp_gt_i32_e64 s1, 0, v7
	v_xor_b32_e32 v6, s0, v6
	s_delay_alu instid0(VALU_DEP_4) | instskip(NEXT) | instid1(VALU_DEP_4)
	v_and_b32_e32 v3, v3, v8
	v_ashrrev_i32_e32 v7, 31, v9
	s_delay_alu instid0(VALU_DEP_2) | instskip(NEXT) | instid1(VALU_DEP_2)
	v_and_b32_e32 v3, v3, v6
	v_xor_b32_e32 v6, s1, v7
	s_mov_b32 s1, exec_lo
	s_delay_alu instid0(VALU_DEP_1) | instskip(NEXT) | instid1(VALU_DEP_1)
	v_and_b32_e32 v3, v3, v6
	v_mbcnt_lo_u32_b32 v6, v3, 0
	s_delay_alu instid0(VALU_DEP_1)
	v_cmpx_eq_u32_e32 0, v6
	s_cbranch_execz .LBB20_12
; %bb.11:
	v_lshlrev_b32_e32 v5, 2, v5
	v_bcnt_u32_b32 v3, v3, 0
	ds_add_u32 v5, v3
.LBB20_12:
	s_or_b32 exec_lo, exec_lo, s1
	v_and_b32_e32 v3, 1, v4
	v_lshlrev_b32_e32 v5, 30, v4
	v_lshlrev_b32_e32 v6, 29, v4
	;; [unrolled: 1-line block ×4, first 2 shown]
	v_add_co_u32 v3, s0, v3, -1
	s_delay_alu instid0(VALU_DEP_1)
	v_cndmask_b32_e64 v7, 0, 1, s0
	v_not_b32_e32 v11, v5
	v_cmp_gt_i32_e64 s1, 0, v5
	v_not_b32_e32 v5, v6
	v_lshlrev_b32_e32 v10, 26, v4
	v_cmp_ne_u32_e64 s0, 0, v7
	v_ashrrev_i32_e32 v11, 31, v11
	v_lshlrev_b32_e32 v7, 25, v4
	v_ashrrev_i32_e32 v5, 31, v5
	s_delay_alu instid0(VALU_DEP_4)
	v_xor_b32_e32 v3, s0, v3
	v_cmp_gt_i32_e64 s0, 0, v6
	v_not_b32_e32 v6, v8
	v_xor_b32_e32 v11, s1, v11
	v_cmp_gt_i32_e64 s1, 0, v8
	v_and_b32_e32 v3, exec_lo, v3
	v_not_b32_e32 v8, v9
	v_ashrrev_i32_e32 v6, 31, v6
	v_xor_b32_e32 v5, s0, v5
	v_cmp_gt_i32_e64 s0, 0, v9
	v_and_b32_e32 v3, v3, v11
	v_not_b32_e32 v9, v10
	v_ashrrev_i32_e32 v8, 31, v8
	v_xor_b32_e32 v6, s1, v6
	v_cmp_gt_i32_e64 s1, 0, v10
	v_and_b32_e32 v3, v3, v5
	;; [unrolled: 5-line block ×3, first 2 shown]
	v_lshlrev_b32_e32 v6, 24, v4
	v_ashrrev_i32_e32 v5, 31, v5
	v_xor_b32_e32 v7, s1, v9
	s_delay_alu instid0(VALU_DEP_4) | instskip(NEXT) | instid1(VALU_DEP_4)
	v_and_b32_e32 v3, v3, v8
	v_not_b32_e32 v8, v6
	v_cmp_gt_i32_e64 s1, 0, v6
	v_xor_b32_e32 v5, s0, v5
	s_delay_alu instid0(VALU_DEP_4) | instskip(NEXT) | instid1(VALU_DEP_4)
	v_and_b32_e32 v3, v3, v7
	v_ashrrev_i32_e32 v6, 31, v8
	s_delay_alu instid0(VALU_DEP_2) | instskip(NEXT) | instid1(VALU_DEP_2)
	v_and_b32_e32 v3, v3, v5
	v_xor_b32_e32 v5, s1, v6
	s_mov_b32 s1, exec_lo
	s_delay_alu instid0(VALU_DEP_1) | instskip(NEXT) | instid1(VALU_DEP_1)
	v_and_b32_e32 v3, v3, v5
	v_mbcnt_lo_u32_b32 v5, v3, 0
	s_delay_alu instid0(VALU_DEP_1)
	v_cmpx_eq_u32_e32 0, v5
	s_cbranch_execz .LBB20_14
; %bb.13:
	v_lshlrev_b32_e32 v4, 2, v4
	v_bcnt_u32_b32 v3, v3, 0
	ds_add_u32 v4, v3
.LBB20_14:
	s_or_b32 exec_lo, exec_lo, s1
	v_and_b32_e32 v3, 1, v2
	v_lshlrev_b32_e32 v4, 30, v2
	v_lshlrev_b32_e32 v5, 29, v2
	;; [unrolled: 1-line block ×4, first 2 shown]
	v_add_co_u32 v3, s0, v3, -1
	s_delay_alu instid0(VALU_DEP_1)
	v_cndmask_b32_e64 v6, 0, 1, s0
	v_not_b32_e32 v10, v4
	v_cmp_gt_i32_e64 s1, 0, v4
	v_not_b32_e32 v4, v5
	v_lshlrev_b32_e32 v9, 26, v2
	v_cmp_ne_u32_e64 s0, 0, v6
	v_ashrrev_i32_e32 v10, 31, v10
	v_lshlrev_b32_e32 v6, 25, v2
	v_ashrrev_i32_e32 v4, 31, v4
	s_delay_alu instid0(VALU_DEP_4)
	v_xor_b32_e32 v3, s0, v3
	v_cmp_gt_i32_e64 s0, 0, v5
	v_not_b32_e32 v5, v7
	v_xor_b32_e32 v10, s1, v10
	v_cmp_gt_i32_e64 s1, 0, v7
	v_and_b32_e32 v3, exec_lo, v3
	v_not_b32_e32 v7, v8
	v_ashrrev_i32_e32 v5, 31, v5
	v_xor_b32_e32 v4, s0, v4
	v_cmp_gt_i32_e64 s0, 0, v8
	v_and_b32_e32 v3, v3, v10
	v_not_b32_e32 v8, v9
	v_ashrrev_i32_e32 v7, 31, v7
	v_xor_b32_e32 v5, s1, v5
	v_cmp_gt_i32_e64 s1, 0, v9
	v_and_b32_e32 v3, v3, v4
	;; [unrolled: 5-line block ×3, first 2 shown]
	v_lshlrev_b32_e32 v5, 24, v2
	v_ashrrev_i32_e32 v4, 31, v4
	v_xor_b32_e32 v6, s1, v8
	s_delay_alu instid0(VALU_DEP_4) | instskip(NEXT) | instid1(VALU_DEP_4)
	v_and_b32_e32 v3, v3, v7
	v_not_b32_e32 v7, v5
	v_cmp_gt_i32_e64 s1, 0, v5
	v_xor_b32_e32 v4, s0, v4
	s_delay_alu instid0(VALU_DEP_4) | instskip(NEXT) | instid1(VALU_DEP_4)
	v_and_b32_e32 v3, v3, v6
	v_ashrrev_i32_e32 v5, 31, v7
	s_delay_alu instid0(VALU_DEP_2) | instskip(NEXT) | instid1(VALU_DEP_2)
	v_and_b32_e32 v3, v3, v4
	v_xor_b32_e32 v4, s1, v5
	s_mov_b32 s1, exec_lo
	s_delay_alu instid0(VALU_DEP_1) | instskip(NEXT) | instid1(VALU_DEP_1)
	v_and_b32_e32 v3, v3, v4
	v_mbcnt_lo_u32_b32 v4, v3, 0
	s_delay_alu instid0(VALU_DEP_1)
	v_cmpx_eq_u32_e32 0, v4
	s_cbranch_execz .LBB20_16
; %bb.15:
	v_lshlrev_b32_e32 v2, 2, v2
	v_bcnt_u32_b32 v3, v3, 0
	ds_add_u32 v2, v3
.LBB20_16:
	s_or_b32 exec_lo, exec_lo, s1
	s_waitcnt lgkmcnt(0)
	s_barrier
	buffer_gl0_inv
	s_barrier
	buffer_gl0_inv
	s_and_saveexec_b32 s0, vcc_lo
	s_cbranch_execz .LBB20_18
; %bb.17:
	ds_load_b32 v3, v0
	v_mov_b32_e32 v2, 0
	s_delay_alu instid0(VALU_DEP_1) | instskip(NEXT) | instid1(VALU_DEP_1)
	v_lshlrev_b64 v[0:1], 2, v[1:2]
	v_add_co_u32 v0, vcc_lo, s2, v0
	s_delay_alu instid0(VALU_DEP_2)
	v_add_co_ci_u32_e32 v1, vcc_lo, s3, v1, vcc_lo
	s_waitcnt lgkmcnt(0)
	global_store_b32 v[0:1], v3, off
.LBB20_18:
	s_nop 0
	s_sendmsg sendmsg(MSG_DEALLOC_VGPRS)
	s_endpgm
	.section	.rodata,"a",@progbits
	.p2align	6, 0x0
	.amdhsa_kernel _Z16histogram_kernelILj162ELj7ELj162ELN6hipcub23BlockHistogramAlgorithmE0EjEvPT3_S3_
		.amdhsa_group_segment_fixed_size 648
		.amdhsa_private_segment_fixed_size 0
		.amdhsa_kernarg_size 16
		.amdhsa_user_sgpr_count 15
		.amdhsa_user_sgpr_dispatch_ptr 0
		.amdhsa_user_sgpr_queue_ptr 0
		.amdhsa_user_sgpr_kernarg_segment_ptr 1
		.amdhsa_user_sgpr_dispatch_id 0
		.amdhsa_user_sgpr_private_segment_size 0
		.amdhsa_wavefront_size32 1
		.amdhsa_uses_dynamic_stack 0
		.amdhsa_enable_private_segment 0
		.amdhsa_system_sgpr_workgroup_id_x 1
		.amdhsa_system_sgpr_workgroup_id_y 0
		.amdhsa_system_sgpr_workgroup_id_z 0
		.amdhsa_system_sgpr_workgroup_info 0
		.amdhsa_system_vgpr_workitem_id 0
		.amdhsa_next_free_vgpr 20
		.amdhsa_next_free_sgpr 16
		.amdhsa_reserve_vcc 1
		.amdhsa_float_round_mode_32 0
		.amdhsa_float_round_mode_16_64 0
		.amdhsa_float_denorm_mode_32 3
		.amdhsa_float_denorm_mode_16_64 3
		.amdhsa_dx10_clamp 1
		.amdhsa_ieee_mode 1
		.amdhsa_fp16_overflow 0
		.amdhsa_workgroup_processor_mode 1
		.amdhsa_memory_ordered 1
		.amdhsa_forward_progress 0
		.amdhsa_shared_vgpr_count 0
		.amdhsa_exception_fp_ieee_invalid_op 0
		.amdhsa_exception_fp_denorm_src 0
		.amdhsa_exception_fp_ieee_div_zero 0
		.amdhsa_exception_fp_ieee_overflow 0
		.amdhsa_exception_fp_ieee_underflow 0
		.amdhsa_exception_fp_ieee_inexact 0
		.amdhsa_exception_int_div_zero 0
	.end_amdhsa_kernel
	.section	.text._Z16histogram_kernelILj162ELj7ELj162ELN6hipcub23BlockHistogramAlgorithmE0EjEvPT3_S3_,"axG",@progbits,_Z16histogram_kernelILj162ELj7ELj162ELN6hipcub23BlockHistogramAlgorithmE0EjEvPT3_S3_,comdat
.Lfunc_end20:
	.size	_Z16histogram_kernelILj162ELj7ELj162ELN6hipcub23BlockHistogramAlgorithmE0EjEvPT3_S3_, .Lfunc_end20-_Z16histogram_kernelILj162ELj7ELj162ELN6hipcub23BlockHistogramAlgorithmE0EjEvPT3_S3_
                                        ; -- End function
	.section	.AMDGPU.csdata,"",@progbits
; Kernel info:
; codeLenInByte = 2564
; NumSgprs: 18
; NumVgprs: 20
; ScratchSize: 0
; MemoryBound: 0
; FloatMode: 240
; IeeeMode: 1
; LDSByteSize: 648 bytes/workgroup (compile time only)
; SGPRBlocks: 2
; VGPRBlocks: 2
; NumSGPRsForWavesPerEU: 18
; NumVGPRsForWavesPerEU: 20
; Occupancy: 15
; WaveLimiterHint : 0
; COMPUTE_PGM_RSRC2:SCRATCH_EN: 0
; COMPUTE_PGM_RSRC2:USER_SGPR: 15
; COMPUTE_PGM_RSRC2:TRAP_HANDLER: 0
; COMPUTE_PGM_RSRC2:TGID_X_EN: 1
; COMPUTE_PGM_RSRC2:TGID_Y_EN: 0
; COMPUTE_PGM_RSRC2:TGID_Z_EN: 0
; COMPUTE_PGM_RSRC2:TIDIG_COMP_CNT: 0
	.section	.text._Z16histogram_kernelILj65ELj5ELj65ELN6hipcub23BlockHistogramAlgorithmE0EjEvPT3_S3_,"axG",@progbits,_Z16histogram_kernelILj65ELj5ELj65ELN6hipcub23BlockHistogramAlgorithmE0EjEvPT3_S3_,comdat
	.protected	_Z16histogram_kernelILj65ELj5ELj65ELN6hipcub23BlockHistogramAlgorithmE0EjEvPT3_S3_ ; -- Begin function _Z16histogram_kernelILj65ELj5ELj65ELN6hipcub23BlockHistogramAlgorithmE0EjEvPT3_S3_
	.globl	_Z16histogram_kernelILj65ELj5ELj65ELN6hipcub23BlockHistogramAlgorithmE0EjEvPT3_S3_
	.p2align	8
	.type	_Z16histogram_kernelILj65ELj5ELj65ELN6hipcub23BlockHistogramAlgorithmE0EjEvPT3_S3_,@function
_Z16histogram_kernelILj65ELj5ELj65ELN6hipcub23BlockHistogramAlgorithmE0EjEvPT3_S3_: ; @_Z16histogram_kernelILj65ELj5ELj65ELN6hipcub23BlockHistogramAlgorithmE0EjEvPT3_S3_
; %bb.0:
	v_mad_u64_u32 v[1:2], null, 0x41, s15, v[0:1]
	s_load_b128 s[0:3], s[0:1], 0x0
	s_delay_alu instid0(VALU_DEP_1) | instskip(NEXT) | instid1(VALU_DEP_1)
	v_lshl_add_u32 v2, v1, 2, v1
	v_dual_mov_b32 v3, 0 :: v_dual_add_nc_u32 v4, 1, v2
	s_delay_alu instid0(VALU_DEP_1) | instskip(SKIP_2) | instid1(VALU_DEP_3)
	v_dual_mov_b32 v5, v3 :: v_dual_add_nc_u32 v6, 2, v2
	v_lshlrev_b64 v[10:11], 2, v[2:3]
	v_dual_mov_b32 v7, v3 :: v_dual_add_nc_u32 v8, 3, v2
	v_lshlrev_b64 v[4:5], 2, v[4:5]
	v_dual_mov_b32 v9, v3 :: v_dual_add_nc_u32 v2, 4, v2
	s_delay_alu instid0(VALU_DEP_3)
	v_lshlrev_b64 v[6:7], 2, v[6:7]
	s_waitcnt lgkmcnt(0)
	v_add_co_u32 v10, vcc_lo, s0, v10
	v_add_co_ci_u32_e32 v11, vcc_lo, s1, v11, vcc_lo
	v_add_co_u32 v4, vcc_lo, s0, v4
	v_lshlrev_b64 v[8:9], 2, v[8:9]
	v_add_co_ci_u32_e32 v5, vcc_lo, s1, v5, vcc_lo
	v_add_co_u32 v12, vcc_lo, s0, v6
	v_add_co_ci_u32_e32 v13, vcc_lo, s1, v7, vcc_lo
	v_lshlrev_b64 v[6:7], 2, v[2:3]
	v_add_co_u32 v8, vcc_lo, s0, v8
	v_add_co_ci_u32_e32 v9, vcc_lo, s1, v9, vcc_lo
	s_delay_alu instid0(VALU_DEP_3) | instskip(NEXT) | instid1(VALU_DEP_4)
	v_add_co_u32 v14, vcc_lo, s0, v6
	v_add_co_ci_u32_e32 v15, vcc_lo, s1, v7, vcc_lo
	s_clause 0x4
	global_load_b32 v7, v[10:11], off
	global_load_b32 v6, v[4:5], off
	global_load_b32 v5, v[12:13], off
	global_load_b32 v4, v[8:9], off
	global_load_b32 v2, v[14:15], off
	v_cmp_gt_u32_e32 vcc_lo, 0x41, v0
	v_lshlrev_b32_e32 v0, 2, v0
	s_and_saveexec_b32 s0, vcc_lo
	s_cbranch_execz .LBB21_2
; %bb.1:
	ds_store_b32 v0, v3
.LBB21_2:
	s_or_b32 exec_lo, exec_lo, s0
	s_waitcnt vmcnt(4)
	v_and_b32_e32 v3, 1, v7
	v_lshlrev_b32_e32 v8, 30, v7
	v_lshlrev_b32_e32 v10, 29, v7
	;; [unrolled: 1-line block ×4, first 2 shown]
	v_add_co_u32 v3, s0, v3, -1
	s_delay_alu instid0(VALU_DEP_1)
	v_cndmask_b32_e64 v9, 0, 1, s0
	v_not_b32_e32 v13, v8
	v_cmp_gt_i32_e64 s1, 0, v8
	v_not_b32_e32 v8, v10
	s_waitcnt vmcnt(0) lgkmcnt(0)
	v_cmp_ne_u32_e64 s0, 0, v9
	v_ashrrev_i32_e32 v13, 31, v13
	v_lshlrev_b32_e32 v9, 26, v7
	v_ashrrev_i32_e32 v8, 31, v8
	s_barrier
	v_xor_b32_e32 v3, s0, v3
	v_cmp_gt_i32_e64 s0, 0, v10
	v_not_b32_e32 v10, v11
	v_xor_b32_e32 v13, s1, v13
	v_cmp_gt_i32_e64 s1, 0, v11
	v_and_b32_e32 v3, exec_lo, v3
	v_not_b32_e32 v11, v12
	v_ashrrev_i32_e32 v10, 31, v10
	v_xor_b32_e32 v8, s0, v8
	v_cmp_gt_i32_e64 s0, 0, v12
	v_and_b32_e32 v3, v3, v13
	v_not_b32_e32 v12, v9
	v_ashrrev_i32_e32 v11, 31, v11
	v_xor_b32_e32 v10, s1, v10
	v_cmp_gt_i32_e64 s1, 0, v9
	v_and_b32_e32 v3, v3, v8
	v_lshlrev_b32_e32 v8, 25, v7
	v_ashrrev_i32_e32 v9, 31, v12
	v_xor_b32_e32 v11, s0, v11
	buffer_gl0_inv
	v_and_b32_e32 v3, v3, v10
	v_not_b32_e32 v10, v8
	v_cmp_gt_i32_e64 s0, 0, v8
	v_xor_b32_e32 v8, s1, v9
	s_mov_b32 s1, exec_lo
	v_and_b32_e32 v3, v3, v11
	v_ashrrev_i32_e32 v9, 31, v10
	s_delay_alu instid0(VALU_DEP_2) | instskip(NEXT) | instid1(VALU_DEP_2)
	v_and_b32_e32 v3, v3, v8
	v_xor_b32_e32 v8, s0, v9
	s_delay_alu instid0(VALU_DEP_1) | instskip(NEXT) | instid1(VALU_DEP_1)
	v_and_b32_e32 v3, v3, v8
	v_mbcnt_lo_u32_b32 v8, v3, 0
	s_delay_alu instid0(VALU_DEP_1)
	v_cmpx_eq_u32_e32 0, v8
	s_cbranch_execz .LBB21_4
; %bb.3:
	v_lshlrev_b32_e32 v7, 2, v7
	v_bcnt_u32_b32 v3, v3, 0
	ds_add_u32 v7, v3
.LBB21_4:
	s_or_b32 exec_lo, exec_lo, s1
	v_and_b32_e32 v3, 1, v6
	v_lshlrev_b32_e32 v7, 30, v6
	v_lshlrev_b32_e32 v9, 29, v6
	v_lshlrev_b32_e32 v10, 28, v6
	v_lshlrev_b32_e32 v11, 27, v6
	v_add_co_u32 v3, s0, v3, -1
	s_delay_alu instid0(VALU_DEP_1) | instskip(SKIP_3) | instid1(VALU_DEP_4)
	v_cndmask_b32_e64 v8, 0, 1, s0
	v_not_b32_e32 v12, v7
	v_cmp_gt_i32_e64 s1, 0, v7
	v_not_b32_e32 v7, v9
	v_cmp_ne_u32_e64 s0, 0, v8
	s_delay_alu instid0(VALU_DEP_4) | instskip(SKIP_1) | instid1(VALU_DEP_4)
	v_ashrrev_i32_e32 v12, 31, v12
	v_lshlrev_b32_e32 v8, 26, v6
	v_ashrrev_i32_e32 v7, 31, v7
	s_delay_alu instid0(VALU_DEP_4)
	v_xor_b32_e32 v3, s0, v3
	v_cmp_gt_i32_e64 s0, 0, v9
	v_not_b32_e32 v9, v10
	v_xor_b32_e32 v12, s1, v12
	v_cmp_gt_i32_e64 s1, 0, v10
	v_and_b32_e32 v3, exec_lo, v3
	v_not_b32_e32 v10, v11
	v_ashrrev_i32_e32 v9, 31, v9
	v_xor_b32_e32 v7, s0, v7
	v_cmp_gt_i32_e64 s0, 0, v11
	v_and_b32_e32 v3, v3, v12
	v_not_b32_e32 v11, v8
	v_ashrrev_i32_e32 v10, 31, v10
	v_xor_b32_e32 v9, s1, v9
	v_cmp_gt_i32_e64 s1, 0, v8
	v_and_b32_e32 v3, v3, v7
	v_lshlrev_b32_e32 v7, 25, v6
	v_ashrrev_i32_e32 v8, 31, v11
	v_xor_b32_e32 v10, s0, v10
	s_delay_alu instid0(VALU_DEP_4) | instskip(NEXT) | instid1(VALU_DEP_4)
	v_and_b32_e32 v3, v3, v9
	v_not_b32_e32 v9, v7
	v_cmp_gt_i32_e64 s0, 0, v7
	v_xor_b32_e32 v7, s1, v8
	s_mov_b32 s1, exec_lo
	v_and_b32_e32 v3, v3, v10
	v_ashrrev_i32_e32 v8, 31, v9
	s_delay_alu instid0(VALU_DEP_2) | instskip(NEXT) | instid1(VALU_DEP_2)
	v_and_b32_e32 v3, v3, v7
	v_xor_b32_e32 v7, s0, v8
	s_delay_alu instid0(VALU_DEP_1) | instskip(NEXT) | instid1(VALU_DEP_1)
	v_and_b32_e32 v3, v3, v7
	v_mbcnt_lo_u32_b32 v7, v3, 0
	s_delay_alu instid0(VALU_DEP_1)
	v_cmpx_eq_u32_e32 0, v7
	s_cbranch_execz .LBB21_6
; %bb.5:
	v_lshlrev_b32_e32 v6, 2, v6
	v_bcnt_u32_b32 v3, v3, 0
	ds_add_u32 v6, v3
.LBB21_6:
	s_or_b32 exec_lo, exec_lo, s1
	v_and_b32_e32 v3, 1, v5
	v_lshlrev_b32_e32 v6, 30, v5
	v_lshlrev_b32_e32 v8, 29, v5
	v_lshlrev_b32_e32 v9, 28, v5
	v_lshlrev_b32_e32 v10, 27, v5
	v_add_co_u32 v3, s0, v3, -1
	s_delay_alu instid0(VALU_DEP_1) | instskip(SKIP_3) | instid1(VALU_DEP_4)
	v_cndmask_b32_e64 v7, 0, 1, s0
	v_not_b32_e32 v11, v6
	v_cmp_gt_i32_e64 s1, 0, v6
	v_not_b32_e32 v6, v8
	v_cmp_ne_u32_e64 s0, 0, v7
	s_delay_alu instid0(VALU_DEP_4) | instskip(SKIP_1) | instid1(VALU_DEP_4)
	v_ashrrev_i32_e32 v11, 31, v11
	v_lshlrev_b32_e32 v7, 26, v5
	v_ashrrev_i32_e32 v6, 31, v6
	s_delay_alu instid0(VALU_DEP_4)
	v_xor_b32_e32 v3, s0, v3
	v_cmp_gt_i32_e64 s0, 0, v8
	v_not_b32_e32 v8, v9
	v_xor_b32_e32 v11, s1, v11
	v_cmp_gt_i32_e64 s1, 0, v9
	v_and_b32_e32 v3, exec_lo, v3
	v_not_b32_e32 v9, v10
	v_ashrrev_i32_e32 v8, 31, v8
	v_xor_b32_e32 v6, s0, v6
	v_cmp_gt_i32_e64 s0, 0, v10
	v_and_b32_e32 v3, v3, v11
	v_not_b32_e32 v10, v7
	v_ashrrev_i32_e32 v9, 31, v9
	v_xor_b32_e32 v8, s1, v8
	v_cmp_gt_i32_e64 s1, 0, v7
	v_and_b32_e32 v3, v3, v6
	v_lshlrev_b32_e32 v6, 25, v5
	v_ashrrev_i32_e32 v7, 31, v10
	v_xor_b32_e32 v9, s0, v9
	s_delay_alu instid0(VALU_DEP_4) | instskip(NEXT) | instid1(VALU_DEP_4)
	;; [unrolled: 59-line block ×4, first 2 shown]
	v_and_b32_e32 v3, v3, v6
	v_not_b32_e32 v6, v4
	v_cmp_gt_i32_e64 s0, 0, v4
	v_xor_b32_e32 v4, s1, v5
	s_mov_b32 s1, exec_lo
	v_and_b32_e32 v3, v3, v7
	v_ashrrev_i32_e32 v5, 31, v6
	s_delay_alu instid0(VALU_DEP_2) | instskip(NEXT) | instid1(VALU_DEP_2)
	v_and_b32_e32 v3, v3, v4
	v_xor_b32_e32 v4, s0, v5
	s_delay_alu instid0(VALU_DEP_1) | instskip(NEXT) | instid1(VALU_DEP_1)
	v_and_b32_e32 v3, v3, v4
	v_mbcnt_lo_u32_b32 v4, v3, 0
	s_delay_alu instid0(VALU_DEP_1)
	v_cmpx_eq_u32_e32 0, v4
	s_cbranch_execz .LBB21_12
; %bb.11:
	v_lshlrev_b32_e32 v2, 2, v2
	v_bcnt_u32_b32 v3, v3, 0
	ds_add_u32 v2, v3
.LBB21_12:
	s_or_b32 exec_lo, exec_lo, s1
	s_waitcnt lgkmcnt(0)
	s_barrier
	buffer_gl0_inv
	s_barrier
	buffer_gl0_inv
	s_and_saveexec_b32 s0, vcc_lo
	s_cbranch_execz .LBB21_14
; %bb.13:
	ds_load_b32 v3, v0
	v_mov_b32_e32 v2, 0
	s_delay_alu instid0(VALU_DEP_1) | instskip(NEXT) | instid1(VALU_DEP_1)
	v_lshlrev_b64 v[0:1], 2, v[1:2]
	v_add_co_u32 v0, vcc_lo, s2, v0
	s_delay_alu instid0(VALU_DEP_2)
	v_add_co_ci_u32_e32 v1, vcc_lo, s3, v1, vcc_lo
	s_waitcnt lgkmcnt(0)
	global_store_b32 v[0:1], v3, off
.LBB21_14:
	s_nop 0
	s_sendmsg sendmsg(MSG_DEALLOC_VGPRS)
	s_endpgm
	.section	.rodata,"a",@progbits
	.p2align	6, 0x0
	.amdhsa_kernel _Z16histogram_kernelILj65ELj5ELj65ELN6hipcub23BlockHistogramAlgorithmE0EjEvPT3_S3_
		.amdhsa_group_segment_fixed_size 260
		.amdhsa_private_segment_fixed_size 0
		.amdhsa_kernarg_size 16
		.amdhsa_user_sgpr_count 15
		.amdhsa_user_sgpr_dispatch_ptr 0
		.amdhsa_user_sgpr_queue_ptr 0
		.amdhsa_user_sgpr_kernarg_segment_ptr 1
		.amdhsa_user_sgpr_dispatch_id 0
		.amdhsa_user_sgpr_private_segment_size 0
		.amdhsa_wavefront_size32 1
		.amdhsa_uses_dynamic_stack 0
		.amdhsa_enable_private_segment 0
		.amdhsa_system_sgpr_workgroup_id_x 1
		.amdhsa_system_sgpr_workgroup_id_y 0
		.amdhsa_system_sgpr_workgroup_id_z 0
		.amdhsa_system_sgpr_workgroup_info 0
		.amdhsa_system_vgpr_workitem_id 0
		.amdhsa_next_free_vgpr 16
		.amdhsa_next_free_sgpr 16
		.amdhsa_reserve_vcc 1
		.amdhsa_float_round_mode_32 0
		.amdhsa_float_round_mode_16_64 0
		.amdhsa_float_denorm_mode_32 3
		.amdhsa_float_denorm_mode_16_64 3
		.amdhsa_dx10_clamp 1
		.amdhsa_ieee_mode 1
		.amdhsa_fp16_overflow 0
		.amdhsa_workgroup_processor_mode 1
		.amdhsa_memory_ordered 1
		.amdhsa_forward_progress 0
		.amdhsa_shared_vgpr_count 0
		.amdhsa_exception_fp_ieee_invalid_op 0
		.amdhsa_exception_fp_denorm_src 0
		.amdhsa_exception_fp_ieee_div_zero 0
		.amdhsa_exception_fp_ieee_overflow 0
		.amdhsa_exception_fp_ieee_underflow 0
		.amdhsa_exception_fp_ieee_inexact 0
		.amdhsa_exception_int_div_zero 0
	.end_amdhsa_kernel
	.section	.text._Z16histogram_kernelILj65ELj5ELj65ELN6hipcub23BlockHistogramAlgorithmE0EjEvPT3_S3_,"axG",@progbits,_Z16histogram_kernelILj65ELj5ELj65ELN6hipcub23BlockHistogramAlgorithmE0EjEvPT3_S3_,comdat
.Lfunc_end21:
	.size	_Z16histogram_kernelILj65ELj5ELj65ELN6hipcub23BlockHistogramAlgorithmE0EjEvPT3_S3_, .Lfunc_end21-_Z16histogram_kernelILj65ELj5ELj65ELN6hipcub23BlockHistogramAlgorithmE0EjEvPT3_S3_
                                        ; -- End function
	.section	.AMDGPU.csdata,"",@progbits
; Kernel info:
; codeLenInByte = 1744
; NumSgprs: 18
; NumVgprs: 16
; ScratchSize: 0
; MemoryBound: 0
; FloatMode: 240
; IeeeMode: 1
; LDSByteSize: 260 bytes/workgroup (compile time only)
; SGPRBlocks: 2
; VGPRBlocks: 1
; NumSGPRsForWavesPerEU: 18
; NumVGPRsForWavesPerEU: 16
; Occupancy: 16
; WaveLimiterHint : 0
; COMPUTE_PGM_RSRC2:SCRATCH_EN: 0
; COMPUTE_PGM_RSRC2:USER_SGPR: 15
; COMPUTE_PGM_RSRC2:TRAP_HANDLER: 0
; COMPUTE_PGM_RSRC2:TGID_X_EN: 1
; COMPUTE_PGM_RSRC2:TGID_Y_EN: 0
; COMPUTE_PGM_RSRC2:TGID_Z_EN: 0
; COMPUTE_PGM_RSRC2:TIDIG_COMP_CNT: 0
	.section	.text._Z16histogram_kernelILj37ELj2ELj37ELN6hipcub23BlockHistogramAlgorithmE0EjEvPT3_S3_,"axG",@progbits,_Z16histogram_kernelILj37ELj2ELj37ELN6hipcub23BlockHistogramAlgorithmE0EjEvPT3_S3_,comdat
	.protected	_Z16histogram_kernelILj37ELj2ELj37ELN6hipcub23BlockHistogramAlgorithmE0EjEvPT3_S3_ ; -- Begin function _Z16histogram_kernelILj37ELj2ELj37ELN6hipcub23BlockHistogramAlgorithmE0EjEvPT3_S3_
	.globl	_Z16histogram_kernelILj37ELj2ELj37ELN6hipcub23BlockHistogramAlgorithmE0EjEvPT3_S3_
	.p2align	8
	.type	_Z16histogram_kernelILj37ELj2ELj37ELN6hipcub23BlockHistogramAlgorithmE0EjEvPT3_S3_,@function
_Z16histogram_kernelILj37ELj2ELj37ELN6hipcub23BlockHistogramAlgorithmE0EjEvPT3_S3_: ; @_Z16histogram_kernelILj37ELj2ELj37ELN6hipcub23BlockHistogramAlgorithmE0EjEvPT3_S3_
; %bb.0:
	s_load_b128 s[0:3], s[0:1], 0x0
	v_mad_u64_u32 v[1:2], null, s15, 37, v[0:1]
	s_delay_alu instid0(VALU_DEP_1) | instskip(NEXT) | instid1(VALU_DEP_1)
	v_dual_mov_b32 v4, 0 :: v_dual_lshlrev_b32 v3, 1, v1
	v_lshlrev_b64 v[2:3], 2, v[3:4]
	s_waitcnt lgkmcnt(0)
	s_delay_alu instid0(VALU_DEP_1) | instskip(NEXT) | instid1(VALU_DEP_2)
	v_add_co_u32 v2, vcc_lo, s0, v2
	v_add_co_ci_u32_e32 v3, vcc_lo, s1, v3, vcc_lo
	v_cmp_gt_u32_e32 vcc_lo, 37, v0
	v_lshlrev_b32_e32 v0, 2, v0
	global_load_b64 v[2:3], v[2:3], off
	s_and_saveexec_b32 s0, vcc_lo
	s_cbranch_execz .LBB22_2
; %bb.1:
	ds_store_b32 v0, v4
.LBB22_2:
	s_or_b32 exec_lo, exec_lo, s0
	s_waitcnt vmcnt(0)
	v_and_b32_e32 v4, 1, v2
	v_lshlrev_b32_e32 v5, 30, v2
	v_lshlrev_b32_e32 v7, 29, v2
	;; [unrolled: 1-line block ×3, first 2 shown]
	s_waitcnt lgkmcnt(0)
	v_add_co_u32 v4, s0, v4, -1
	s_delay_alu instid0(VALU_DEP_1)
	v_cndmask_b32_e64 v6, 0, 1, s0
	v_not_b32_e32 v9, v5
	v_cmp_gt_i32_e64 s1, 0, v5
	v_not_b32_e32 v5, v7
	s_barrier
	v_cmp_ne_u32_e64 s0, 0, v6
	v_ashrrev_i32_e32 v9, 31, v9
	v_lshlrev_b32_e32 v6, 27, v2
	v_ashrrev_i32_e32 v5, 31, v5
	buffer_gl0_inv
	v_xor_b32_e32 v4, s0, v4
	v_cmp_gt_i32_e64 s0, 0, v7
	v_not_b32_e32 v7, v8
	v_xor_b32_e32 v9, s1, v9
	v_cmp_gt_i32_e64 s1, 0, v8
	v_and_b32_e32 v4, exec_lo, v4
	v_not_b32_e32 v8, v6
	v_ashrrev_i32_e32 v7, 31, v7
	v_xor_b32_e32 v5, s0, v5
	v_cmp_gt_i32_e64 s0, 0, v6
	v_and_b32_e32 v4, v4, v9
	v_lshlrev_b32_e32 v9, 26, v2
	v_ashrrev_i32_e32 v6, 31, v8
	v_xor_b32_e32 v7, s1, v7
	s_delay_alu instid0(VALU_DEP_4) | instskip(NEXT) | instid1(VALU_DEP_4)
	v_and_b32_e32 v4, v4, v5
	v_not_b32_e32 v5, v9
	v_cmp_gt_i32_e64 s1, 0, v9
	v_xor_b32_e32 v6, s0, v6
	s_delay_alu instid0(VALU_DEP_4) | instskip(NEXT) | instid1(VALU_DEP_4)
	v_and_b32_e32 v4, v4, v7
	v_ashrrev_i32_e32 v5, 31, v5
	s_delay_alu instid0(VALU_DEP_2) | instskip(NEXT) | instid1(VALU_DEP_2)
	v_and_b32_e32 v4, v4, v6
	v_xor_b32_e32 v5, s1, v5
	s_mov_b32 s1, exec_lo
	s_delay_alu instid0(VALU_DEP_1) | instskip(NEXT) | instid1(VALU_DEP_1)
	v_and_b32_e32 v4, v4, v5
	v_mbcnt_lo_u32_b32 v5, v4, 0
	s_delay_alu instid0(VALU_DEP_1)
	v_cmpx_eq_u32_e32 0, v5
	s_cbranch_execz .LBB22_4
; %bb.3:
	v_lshlrev_b32_e32 v2, 2, v2
	v_bcnt_u32_b32 v4, v4, 0
	ds_add_u32 v2, v4
.LBB22_4:
	s_or_b32 exec_lo, exec_lo, s1
	v_and_b32_e32 v2, 1, v3
	v_lshlrev_b32_e32 v4, 30, v3
	v_lshlrev_b32_e32 v6, 29, v3
	;; [unrolled: 1-line block ×3, first 2 shown]
	s_delay_alu instid0(VALU_DEP_4) | instskip(NEXT) | instid1(VALU_DEP_1)
	v_add_co_u32 v2, s0, v2, -1
	v_cndmask_b32_e64 v5, 0, 1, s0
	v_not_b32_e32 v8, v4
	v_cmp_gt_i32_e64 s1, 0, v4
	v_not_b32_e32 v4, v6
	s_delay_alu instid0(VALU_DEP_4) | instskip(NEXT) | instid1(VALU_DEP_4)
	v_cmp_ne_u32_e64 s0, 0, v5
	v_ashrrev_i32_e32 v8, 31, v8
	v_lshlrev_b32_e32 v5, 27, v3
	s_delay_alu instid0(VALU_DEP_4) | instskip(NEXT) | instid1(VALU_DEP_4)
	v_ashrrev_i32_e32 v4, 31, v4
	v_xor_b32_e32 v2, s0, v2
	v_cmp_gt_i32_e64 s0, 0, v6
	v_not_b32_e32 v6, v7
	v_xor_b32_e32 v8, s1, v8
	v_cmp_gt_i32_e64 s1, 0, v7
	v_and_b32_e32 v2, exec_lo, v2
	v_not_b32_e32 v7, v5
	v_ashrrev_i32_e32 v6, 31, v6
	v_xor_b32_e32 v4, s0, v4
	v_cmp_gt_i32_e64 s0, 0, v5
	v_and_b32_e32 v2, v2, v8
	v_lshlrev_b32_e32 v8, 26, v3
	v_ashrrev_i32_e32 v5, 31, v7
	v_xor_b32_e32 v6, s1, v6
	s_delay_alu instid0(VALU_DEP_4) | instskip(NEXT) | instid1(VALU_DEP_4)
	v_and_b32_e32 v2, v2, v4
	v_not_b32_e32 v4, v8
	v_cmp_gt_i32_e64 s1, 0, v8
	v_xor_b32_e32 v5, s0, v5
	s_delay_alu instid0(VALU_DEP_4) | instskip(NEXT) | instid1(VALU_DEP_4)
	v_and_b32_e32 v2, v2, v6
	v_ashrrev_i32_e32 v4, 31, v4
	s_delay_alu instid0(VALU_DEP_2) | instskip(NEXT) | instid1(VALU_DEP_2)
	v_and_b32_e32 v2, v2, v5
	v_xor_b32_e32 v4, s1, v4
	s_mov_b32 s1, exec_lo
	s_delay_alu instid0(VALU_DEP_1) | instskip(NEXT) | instid1(VALU_DEP_1)
	v_and_b32_e32 v2, v2, v4
	v_mbcnt_lo_u32_b32 v4, v2, 0
	s_delay_alu instid0(VALU_DEP_1)
	v_cmpx_eq_u32_e32 0, v4
	s_cbranch_execz .LBB22_6
; %bb.5:
	v_lshlrev_b32_e32 v3, 2, v3
	v_bcnt_u32_b32 v2, v2, 0
	ds_add_u32 v3, v2
.LBB22_6:
	s_or_b32 exec_lo, exec_lo, s1
	s_waitcnt lgkmcnt(0)
	s_barrier
	buffer_gl0_inv
	s_barrier
	buffer_gl0_inv
	s_and_saveexec_b32 s0, vcc_lo
	s_cbranch_execz .LBB22_8
; %bb.7:
	ds_load_b32 v3, v0
	v_mov_b32_e32 v2, 0
	s_delay_alu instid0(VALU_DEP_1) | instskip(NEXT) | instid1(VALU_DEP_1)
	v_lshlrev_b64 v[0:1], 2, v[1:2]
	v_add_co_u32 v0, vcc_lo, s2, v0
	s_delay_alu instid0(VALU_DEP_2)
	v_add_co_ci_u32_e32 v1, vcc_lo, s3, v1, vcc_lo
	s_waitcnt lgkmcnt(0)
	global_store_b32 v[0:1], v3, off
.LBB22_8:
	s_nop 0
	s_sendmsg sendmsg(MSG_DEALLOC_VGPRS)
	s_endpgm
	.section	.rodata,"a",@progbits
	.p2align	6, 0x0
	.amdhsa_kernel _Z16histogram_kernelILj37ELj2ELj37ELN6hipcub23BlockHistogramAlgorithmE0EjEvPT3_S3_
		.amdhsa_group_segment_fixed_size 148
		.amdhsa_private_segment_fixed_size 0
		.amdhsa_kernarg_size 16
		.amdhsa_user_sgpr_count 15
		.amdhsa_user_sgpr_dispatch_ptr 0
		.amdhsa_user_sgpr_queue_ptr 0
		.amdhsa_user_sgpr_kernarg_segment_ptr 1
		.amdhsa_user_sgpr_dispatch_id 0
		.amdhsa_user_sgpr_private_segment_size 0
		.amdhsa_wavefront_size32 1
		.amdhsa_uses_dynamic_stack 0
		.amdhsa_enable_private_segment 0
		.amdhsa_system_sgpr_workgroup_id_x 1
		.amdhsa_system_sgpr_workgroup_id_y 0
		.amdhsa_system_sgpr_workgroup_id_z 0
		.amdhsa_system_sgpr_workgroup_info 0
		.amdhsa_system_vgpr_workitem_id 0
		.amdhsa_next_free_vgpr 10
		.amdhsa_next_free_sgpr 16
		.amdhsa_reserve_vcc 1
		.amdhsa_float_round_mode_32 0
		.amdhsa_float_round_mode_16_64 0
		.amdhsa_float_denorm_mode_32 3
		.amdhsa_float_denorm_mode_16_64 3
		.amdhsa_dx10_clamp 1
		.amdhsa_ieee_mode 1
		.amdhsa_fp16_overflow 0
		.amdhsa_workgroup_processor_mode 1
		.amdhsa_memory_ordered 1
		.amdhsa_forward_progress 0
		.amdhsa_shared_vgpr_count 0
		.amdhsa_exception_fp_ieee_invalid_op 0
		.amdhsa_exception_fp_denorm_src 0
		.amdhsa_exception_fp_ieee_div_zero 0
		.amdhsa_exception_fp_ieee_overflow 0
		.amdhsa_exception_fp_ieee_underflow 0
		.amdhsa_exception_fp_ieee_inexact 0
		.amdhsa_exception_int_div_zero 0
	.end_amdhsa_kernel
	.section	.text._Z16histogram_kernelILj37ELj2ELj37ELN6hipcub23BlockHistogramAlgorithmE0EjEvPT3_S3_,"axG",@progbits,_Z16histogram_kernelILj37ELj2ELj37ELN6hipcub23BlockHistogramAlgorithmE0EjEvPT3_S3_,comdat
.Lfunc_end22:
	.size	_Z16histogram_kernelILj37ELj2ELj37ELN6hipcub23BlockHistogramAlgorithmE0EjEvPT3_S3_, .Lfunc_end22-_Z16histogram_kernelILj37ELj2ELj37ELN6hipcub23BlockHistogramAlgorithmE0EjEvPT3_S3_
                                        ; -- End function
	.section	.AMDGPU.csdata,"",@progbits
; Kernel info:
; codeLenInByte = 708
; NumSgprs: 18
; NumVgprs: 10
; ScratchSize: 0
; MemoryBound: 0
; FloatMode: 240
; IeeeMode: 1
; LDSByteSize: 148 bytes/workgroup (compile time only)
; SGPRBlocks: 2
; VGPRBlocks: 1
; NumSGPRsForWavesPerEU: 18
; NumVGPRsForWavesPerEU: 10
; Occupancy: 16
; WaveLimiterHint : 0
; COMPUTE_PGM_RSRC2:SCRATCH_EN: 0
; COMPUTE_PGM_RSRC2:USER_SGPR: 15
; COMPUTE_PGM_RSRC2:TRAP_HANDLER: 0
; COMPUTE_PGM_RSRC2:TGID_X_EN: 1
; COMPUTE_PGM_RSRC2:TGID_Y_EN: 0
; COMPUTE_PGM_RSRC2:TGID_Z_EN: 0
; COMPUTE_PGM_RSRC2:TIDIG_COMP_CNT: 0
	.section	.text._Z16histogram_kernelILj1024ELj1ELj1024ELN6hipcub23BlockHistogramAlgorithmE0EjEvPT3_S3_,"axG",@progbits,_Z16histogram_kernelILj1024ELj1ELj1024ELN6hipcub23BlockHistogramAlgorithmE0EjEvPT3_S3_,comdat
	.protected	_Z16histogram_kernelILj1024ELj1ELj1024ELN6hipcub23BlockHistogramAlgorithmE0EjEvPT3_S3_ ; -- Begin function _Z16histogram_kernelILj1024ELj1ELj1024ELN6hipcub23BlockHistogramAlgorithmE0EjEvPT3_S3_
	.globl	_Z16histogram_kernelILj1024ELj1ELj1024ELN6hipcub23BlockHistogramAlgorithmE0EjEvPT3_S3_
	.p2align	8
	.type	_Z16histogram_kernelILj1024ELj1ELj1024ELN6hipcub23BlockHistogramAlgorithmE0EjEvPT3_S3_,@function
_Z16histogram_kernelILj1024ELj1ELj1024ELN6hipcub23BlockHistogramAlgorithmE0EjEvPT3_S3_: ; @_Z16histogram_kernelILj1024ELj1ELj1024ELN6hipcub23BlockHistogramAlgorithmE0EjEvPT3_S3_
; %bb.0:
	s_load_b128 s[0:3], s[0:1], 0x0
	v_mov_b32_e32 v5, 0
	v_lshl_or_b32 v4, s15, 10, v0
	v_lshlrev_b32_e32 v0, 2, v0
	s_delay_alu instid0(VALU_DEP_2) | instskip(SKIP_1) | instid1(VALU_DEP_1)
	v_lshlrev_b64 v[1:2], 2, v[4:5]
	s_waitcnt lgkmcnt(0)
	v_add_co_u32 v3, vcc_lo, s0, v1
	s_delay_alu instid0(VALU_DEP_2)
	v_add_co_ci_u32_e32 v4, vcc_lo, s1, v2, vcc_lo
	global_load_b32 v3, v[3:4], off
	s_waitcnt vmcnt(0)
	v_and_b32_e32 v4, 1, v3
	v_lshlrev_b32_e32 v6, 30, v3
	v_lshlrev_b32_e32 v7, 29, v3
	v_lshlrev_b32_e32 v8, 28, v3
	v_lshlrev_b32_e32 v9, 27, v3
	v_add_co_u32 v4, s0, v4, -1
	s_delay_alu instid0(VALU_DEP_1)
	v_cndmask_b32_e64 v10, 0, 1, s0
	v_not_b32_e32 v14, v6
	v_cmp_gt_i32_e64 s0, 0, v6
	v_not_b32_e32 v6, v7
	v_lshlrev_b32_e32 v11, 26, v3
	v_cmp_ne_u32_e32 vcc_lo, 0, v10
	v_ashrrev_i32_e32 v14, 31, v14
	v_lshlrev_b32_e32 v12, 25, v3
	v_ashrrev_i32_e32 v6, 31, v6
	v_lshlrev_b32_e32 v13, 24, v3
	v_xor_b32_e32 v4, vcc_lo, v4
	v_cmp_gt_i32_e32 vcc_lo, 0, v7
	v_not_b32_e32 v7, v8
	v_xor_b32_e32 v14, s0, v14
	v_cmp_gt_i32_e64 s0, 0, v8
	v_and_b32_e32 v4, exec_lo, v4
	v_not_b32_e32 v8, v9
	v_ashrrev_i32_e32 v7, 31, v7
	v_xor_b32_e32 v6, vcc_lo, v6
	v_cmp_gt_i32_e32 vcc_lo, 0, v9
	v_and_b32_e32 v4, v4, v14
	v_not_b32_e32 v9, v11
	v_ashrrev_i32_e32 v8, 31, v8
	v_xor_b32_e32 v7, s0, v7
	v_cmp_gt_i32_e64 s0, 0, v11
	v_and_b32_e32 v4, v4, v6
	v_not_b32_e32 v6, v12
	v_ashrrev_i32_e32 v9, 31, v9
	v_xor_b32_e32 v8, vcc_lo, v8
	v_lshlrev_b32_e32 v10, 23, v3
	v_and_b32_e32 v4, v4, v7
	v_cmp_gt_i32_e32 vcc_lo, 0, v12
	v_not_b32_e32 v7, v13
	v_ashrrev_i32_e32 v6, 31, v6
	v_xor_b32_e32 v9, s0, v9
	v_and_b32_e32 v4, v4, v8
	v_cmp_gt_i32_e64 s0, 0, v13
	v_not_b32_e32 v8, v10
	v_ashrrev_i32_e32 v7, 31, v7
	v_xor_b32_e32 v6, vcc_lo, v6
	v_and_b32_e32 v4, v4, v9
	v_lshlrev_b32_e32 v9, 22, v3
	v_cmp_gt_i32_e32 vcc_lo, 0, v10
	v_ashrrev_i32_e32 v8, 31, v8
	v_xor_b32_e32 v7, s0, v7
	v_and_b32_e32 v4, v4, v6
	v_not_b32_e32 v6, v9
	v_cmp_gt_i32_e64 s0, 0, v9
	v_xor_b32_e32 v8, vcc_lo, v8
	ds_store_b32 v0, v5
	v_and_b32_e32 v4, v4, v7
	v_ashrrev_i32_e32 v6, 31, v6
	s_waitcnt lgkmcnt(0)
	s_barrier
	buffer_gl0_inv
	v_and_b32_e32 v4, v4, v8
	v_xor_b32_e32 v6, s0, v6
	s_mov_b32 s0, exec_lo
	s_delay_alu instid0(VALU_DEP_1) | instskip(NEXT) | instid1(VALU_DEP_1)
	v_and_b32_e32 v4, v4, v6
	v_mbcnt_lo_u32_b32 v6, v4, 0
	s_delay_alu instid0(VALU_DEP_1)
	v_cmpx_eq_u32_e32 0, v6
	s_cbranch_execz .LBB23_2
; %bb.1:
	v_lshlrev_b32_e32 v3, 2, v3
	v_bcnt_u32_b32 v4, v4, 0
	ds_add_u32 v3, v4
.LBB23_2:
	s_or_b32 exec_lo, exec_lo, s0
	s_waitcnt lgkmcnt(0)
	s_barrier
	buffer_gl0_inv
	s_barrier
	buffer_gl0_inv
	ds_load_b32 v3, v0
	v_add_co_u32 v0, vcc_lo, s2, v1
	v_add_co_ci_u32_e32 v1, vcc_lo, s3, v2, vcc_lo
	s_waitcnt lgkmcnt(0)
	global_store_b32 v[0:1], v3, off
	s_nop 0
	s_sendmsg sendmsg(MSG_DEALLOC_VGPRS)
	s_endpgm
	.section	.rodata,"a",@progbits
	.p2align	6, 0x0
	.amdhsa_kernel _Z16histogram_kernelILj1024ELj1ELj1024ELN6hipcub23BlockHistogramAlgorithmE0EjEvPT3_S3_
		.amdhsa_group_segment_fixed_size 4096
		.amdhsa_private_segment_fixed_size 0
		.amdhsa_kernarg_size 16
		.amdhsa_user_sgpr_count 15
		.amdhsa_user_sgpr_dispatch_ptr 0
		.amdhsa_user_sgpr_queue_ptr 0
		.amdhsa_user_sgpr_kernarg_segment_ptr 1
		.amdhsa_user_sgpr_dispatch_id 0
		.amdhsa_user_sgpr_private_segment_size 0
		.amdhsa_wavefront_size32 1
		.amdhsa_uses_dynamic_stack 0
		.amdhsa_enable_private_segment 0
		.amdhsa_system_sgpr_workgroup_id_x 1
		.amdhsa_system_sgpr_workgroup_id_y 0
		.amdhsa_system_sgpr_workgroup_id_z 0
		.amdhsa_system_sgpr_workgroup_info 0
		.amdhsa_system_vgpr_workitem_id 0
		.amdhsa_next_free_vgpr 15
		.amdhsa_next_free_sgpr 16
		.amdhsa_reserve_vcc 1
		.amdhsa_float_round_mode_32 0
		.amdhsa_float_round_mode_16_64 0
		.amdhsa_float_denorm_mode_32 3
		.amdhsa_float_denorm_mode_16_64 3
		.amdhsa_dx10_clamp 1
		.amdhsa_ieee_mode 1
		.amdhsa_fp16_overflow 0
		.amdhsa_workgroup_processor_mode 1
		.amdhsa_memory_ordered 1
		.amdhsa_forward_progress 0
		.amdhsa_shared_vgpr_count 0
		.amdhsa_exception_fp_ieee_invalid_op 0
		.amdhsa_exception_fp_denorm_src 0
		.amdhsa_exception_fp_ieee_div_zero 0
		.amdhsa_exception_fp_ieee_overflow 0
		.amdhsa_exception_fp_ieee_underflow 0
		.amdhsa_exception_fp_ieee_inexact 0
		.amdhsa_exception_int_div_zero 0
	.end_amdhsa_kernel
	.section	.text._Z16histogram_kernelILj1024ELj1ELj1024ELN6hipcub23BlockHistogramAlgorithmE0EjEvPT3_S3_,"axG",@progbits,_Z16histogram_kernelILj1024ELj1ELj1024ELN6hipcub23BlockHistogramAlgorithmE0EjEvPT3_S3_,comdat
.Lfunc_end23:
	.size	_Z16histogram_kernelILj1024ELj1ELj1024ELN6hipcub23BlockHistogramAlgorithmE0EjEvPT3_S3_, .Lfunc_end23-_Z16histogram_kernelILj1024ELj1ELj1024ELN6hipcub23BlockHistogramAlgorithmE0EjEvPT3_S3_
                                        ; -- End function
	.section	.AMDGPU.csdata,"",@progbits
; Kernel info:
; codeLenInByte = 488
; NumSgprs: 18
; NumVgprs: 15
; ScratchSize: 0
; MemoryBound: 0
; FloatMode: 240
; IeeeMode: 1
; LDSByteSize: 4096 bytes/workgroup (compile time only)
; SGPRBlocks: 2
; VGPRBlocks: 1
; NumSGPRsForWavesPerEU: 18
; NumVGPRsForWavesPerEU: 15
; Occupancy: 16
; WaveLimiterHint : 0
; COMPUTE_PGM_RSRC2:SCRATCH_EN: 0
; COMPUTE_PGM_RSRC2:USER_SGPR: 15
; COMPUTE_PGM_RSRC2:TRAP_HANDLER: 0
; COMPUTE_PGM_RSRC2:TGID_X_EN: 1
; COMPUTE_PGM_RSRC2:TGID_Y_EN: 0
; COMPUTE_PGM_RSRC2:TGID_Z_EN: 0
; COMPUTE_PGM_RSRC2:TIDIG_COMP_CNT: 0
	.section	.text._Z16histogram_kernelILj512ELj4ELj512ELN6hipcub23BlockHistogramAlgorithmE0EjEvPT3_S3_,"axG",@progbits,_Z16histogram_kernelILj512ELj4ELj512ELN6hipcub23BlockHistogramAlgorithmE0EjEvPT3_S3_,comdat
	.protected	_Z16histogram_kernelILj512ELj4ELj512ELN6hipcub23BlockHistogramAlgorithmE0EjEvPT3_S3_ ; -- Begin function _Z16histogram_kernelILj512ELj4ELj512ELN6hipcub23BlockHistogramAlgorithmE0EjEvPT3_S3_
	.globl	_Z16histogram_kernelILj512ELj4ELj512ELN6hipcub23BlockHistogramAlgorithmE0EjEvPT3_S3_
	.p2align	8
	.type	_Z16histogram_kernelILj512ELj4ELj512ELN6hipcub23BlockHistogramAlgorithmE0EjEvPT3_S3_,@function
_Z16histogram_kernelILj512ELj4ELj512ELN6hipcub23BlockHistogramAlgorithmE0EjEvPT3_S3_: ; @_Z16histogram_kernelILj512ELj4ELj512ELN6hipcub23BlockHistogramAlgorithmE0EjEvPT3_S3_
; %bb.0:
	s_load_b128 s[0:3], s[0:1], 0x0
	v_dual_mov_b32 v5, 0 :: v_dual_lshlrev_b32 v6, 2, v0
	s_delay_alu instid0(VALU_DEP_1) | instskip(NEXT) | instid1(VALU_DEP_1)
	v_lshl_or_b32 v4, s15, 11, v6
	v_lshlrev_b64 v[1:2], 2, v[4:5]
	s_waitcnt lgkmcnt(0)
	s_delay_alu instid0(VALU_DEP_1) | instskip(NEXT) | instid1(VALU_DEP_2)
	v_add_co_u32 v1, vcc_lo, s0, v1
	v_add_co_ci_u32_e32 v2, vcc_lo, s1, v2, vcc_lo
	v_cmp_gt_u32_e32 vcc_lo, 0x200, v0
	global_load_b128 v[1:4], v[1:2], off
	s_and_saveexec_b32 s0, vcc_lo
	s_cbranch_execz .LBB24_2
; %bb.1:
	ds_store_b32 v6, v5
.LBB24_2:
	s_or_b32 exec_lo, exec_lo, s0
	s_waitcnt vmcnt(0)
	v_and_b32_e32 v5, 1, v1
	v_lshlrev_b32_e32 v7, 30, v1
	v_lshlrev_b32_e32 v8, 29, v1
	;; [unrolled: 1-line block ×4, first 2 shown]
	v_add_co_u32 v5, s0, v5, -1
	s_delay_alu instid0(VALU_DEP_1)
	v_cndmask_b32_e64 v9, 0, 1, s0
	v_not_b32_e32 v13, v7
	v_cmp_gt_i32_e64 s1, 0, v7
	v_not_b32_e32 v7, v8
	v_lshlrev_b32_e32 v12, 26, v1
	v_cmp_ne_u32_e64 s0, 0, v9
	v_ashrrev_i32_e32 v13, 31, v13
	v_lshlrev_b32_e32 v9, 25, v1
	v_ashrrev_i32_e32 v7, 31, v7
	s_waitcnt lgkmcnt(0)
	v_xor_b32_e32 v5, s0, v5
	v_cmp_gt_i32_e64 s0, 0, v8
	v_not_b32_e32 v8, v10
	v_xor_b32_e32 v13, s1, v13
	v_cmp_gt_i32_e64 s1, 0, v10
	v_and_b32_e32 v5, exec_lo, v5
	v_not_b32_e32 v10, v11
	v_ashrrev_i32_e32 v8, 31, v8
	v_xor_b32_e32 v7, s0, v7
	v_cmp_gt_i32_e64 s0, 0, v11
	v_and_b32_e32 v5, v5, v13
	v_not_b32_e32 v11, v12
	v_ashrrev_i32_e32 v10, 31, v10
	v_xor_b32_e32 v8, s1, v8
	v_cmp_gt_i32_e64 s1, 0, v12
	v_and_b32_e32 v5, v5, v7
	v_lshlrev_b32_e32 v7, 24, v1
	v_ashrrev_i32_e32 v11, 31, v11
	v_xor_b32_e32 v10, s0, v10
	v_cmp_gt_i32_e64 s0, 0, v9
	v_and_b32_e32 v5, v5, v8
	v_not_b32_e32 v8, v9
	v_not_b32_e32 v9, v7
	v_xor_b32_e32 v11, s1, v11
	v_cmp_gt_i32_e64 s1, 0, v7
	v_and_b32_e32 v5, v5, v10
	v_ashrrev_i32_e32 v8, 31, v8
	v_lshlrev_b32_e32 v10, 23, v1
	v_ashrrev_i32_e32 v7, 31, v9
	s_barrier
	v_and_b32_e32 v5, v5, v11
	v_xor_b32_e32 v8, s0, v8
	v_not_b32_e32 v9, v10
	v_cmp_gt_i32_e64 s0, 0, v10
	v_xor_b32_e32 v7, s1, v7
	s_mov_b32 s1, exec_lo
	v_and_b32_e32 v5, v5, v8
	v_ashrrev_i32_e32 v8, 31, v9
	buffer_gl0_inv
	v_and_b32_e32 v5, v5, v7
	v_xor_b32_e32 v7, s0, v8
	s_delay_alu instid0(VALU_DEP_1) | instskip(NEXT) | instid1(VALU_DEP_1)
	v_and_b32_e32 v5, v5, v7
	v_mbcnt_lo_u32_b32 v7, v5, 0
	s_delay_alu instid0(VALU_DEP_1)
	v_cmpx_eq_u32_e32 0, v7
	s_cbranch_execz .LBB24_4
; %bb.3:
	v_lshlrev_b32_e32 v1, 2, v1
	v_bcnt_u32_b32 v5, v5, 0
	ds_add_u32 v1, v5
.LBB24_4:
	s_or_b32 exec_lo, exec_lo, s1
	v_and_b32_e32 v1, 1, v2
	v_lshlrev_b32_e32 v5, 30, v2
	v_lshlrev_b32_e32 v7, 29, v2
	;; [unrolled: 1-line block ×4, first 2 shown]
	v_add_co_u32 v1, s0, v1, -1
	s_delay_alu instid0(VALU_DEP_1)
	v_cndmask_b32_e64 v8, 0, 1, s0
	v_not_b32_e32 v12, v5
	v_cmp_gt_i32_e64 s1, 0, v5
	v_not_b32_e32 v5, v7
	v_lshlrev_b32_e32 v11, 26, v2
	v_cmp_ne_u32_e64 s0, 0, v8
	v_ashrrev_i32_e32 v12, 31, v12
	v_lshlrev_b32_e32 v8, 25, v2
	v_ashrrev_i32_e32 v5, 31, v5
	s_delay_alu instid0(VALU_DEP_4)
	v_xor_b32_e32 v1, s0, v1
	v_cmp_gt_i32_e64 s0, 0, v7
	v_not_b32_e32 v7, v9
	v_xor_b32_e32 v12, s1, v12
	v_cmp_gt_i32_e64 s1, 0, v9
	v_and_b32_e32 v1, exec_lo, v1
	v_not_b32_e32 v9, v10
	v_ashrrev_i32_e32 v7, 31, v7
	v_xor_b32_e32 v5, s0, v5
	v_cmp_gt_i32_e64 s0, 0, v10
	v_and_b32_e32 v1, v1, v12
	v_not_b32_e32 v10, v11
	v_ashrrev_i32_e32 v9, 31, v9
	v_xor_b32_e32 v7, s1, v7
	v_cmp_gt_i32_e64 s1, 0, v11
	v_and_b32_e32 v1, v1, v5
	v_lshlrev_b32_e32 v5, 24, v2
	v_ashrrev_i32_e32 v10, 31, v10
	v_xor_b32_e32 v9, s0, v9
	v_cmp_gt_i32_e64 s0, 0, v8
	v_and_b32_e32 v1, v1, v7
	v_not_b32_e32 v7, v8
	v_not_b32_e32 v8, v5
	v_xor_b32_e32 v10, s1, v10
	v_cmp_gt_i32_e64 s1, 0, v5
	v_and_b32_e32 v1, v1, v9
	v_ashrrev_i32_e32 v7, 31, v7
	v_lshlrev_b32_e32 v9, 23, v2
	v_ashrrev_i32_e32 v5, 31, v8
	s_delay_alu instid0(VALU_DEP_4) | instskip(NEXT) | instid1(VALU_DEP_4)
	v_and_b32_e32 v1, v1, v10
	v_xor_b32_e32 v7, s0, v7
	s_delay_alu instid0(VALU_DEP_4)
	v_not_b32_e32 v8, v9
	v_cmp_gt_i32_e64 s0, 0, v9
	v_xor_b32_e32 v5, s1, v5
	s_mov_b32 s1, exec_lo
	v_and_b32_e32 v1, v1, v7
	v_ashrrev_i32_e32 v7, 31, v8
	s_delay_alu instid0(VALU_DEP_2) | instskip(NEXT) | instid1(VALU_DEP_2)
	v_and_b32_e32 v1, v1, v5
	v_xor_b32_e32 v5, s0, v7
	s_delay_alu instid0(VALU_DEP_1) | instskip(NEXT) | instid1(VALU_DEP_1)
	v_and_b32_e32 v1, v1, v5
	v_mbcnt_lo_u32_b32 v5, v1, 0
	s_delay_alu instid0(VALU_DEP_1)
	v_cmpx_eq_u32_e32 0, v5
	s_cbranch_execz .LBB24_6
; %bb.5:
	v_lshlrev_b32_e32 v2, 2, v2
	v_bcnt_u32_b32 v1, v1, 0
	ds_add_u32 v2, v1
.LBB24_6:
	s_or_b32 exec_lo, exec_lo, s1
	v_and_b32_e32 v1, 1, v3
	v_lshlrev_b32_e32 v2, 30, v3
	v_lshlrev_b32_e32 v5, 29, v3
	;; [unrolled: 1-line block ×4, first 2 shown]
	v_add_co_u32 v1, s0, v1, -1
	s_delay_alu instid0(VALU_DEP_1)
	v_cndmask_b32_e64 v7, 0, 1, s0
	v_not_b32_e32 v11, v2
	v_cmp_gt_i32_e64 s1, 0, v2
	v_not_b32_e32 v2, v5
	v_lshlrev_b32_e32 v10, 26, v3
	v_cmp_ne_u32_e64 s0, 0, v7
	v_ashrrev_i32_e32 v11, 31, v11
	v_lshlrev_b32_e32 v7, 25, v3
	v_ashrrev_i32_e32 v2, 31, v2
	s_delay_alu instid0(VALU_DEP_4)
	v_xor_b32_e32 v1, s0, v1
	v_cmp_gt_i32_e64 s0, 0, v5
	v_not_b32_e32 v5, v8
	v_xor_b32_e32 v11, s1, v11
	v_cmp_gt_i32_e64 s1, 0, v8
	v_and_b32_e32 v1, exec_lo, v1
	v_not_b32_e32 v8, v9
	v_ashrrev_i32_e32 v5, 31, v5
	v_xor_b32_e32 v2, s0, v2
	v_cmp_gt_i32_e64 s0, 0, v9
	v_and_b32_e32 v1, v1, v11
	v_not_b32_e32 v9, v10
	v_ashrrev_i32_e32 v8, 31, v8
	v_xor_b32_e32 v5, s1, v5
	v_cmp_gt_i32_e64 s1, 0, v10
	v_and_b32_e32 v1, v1, v2
	v_lshlrev_b32_e32 v2, 24, v3
	v_ashrrev_i32_e32 v9, 31, v9
	v_xor_b32_e32 v8, s0, v8
	v_cmp_gt_i32_e64 s0, 0, v7
	v_and_b32_e32 v1, v1, v5
	v_not_b32_e32 v5, v7
	v_not_b32_e32 v7, v2
	v_xor_b32_e32 v9, s1, v9
	v_cmp_gt_i32_e64 s1, 0, v2
	v_and_b32_e32 v1, v1, v8
	v_ashrrev_i32_e32 v5, 31, v5
	v_lshlrev_b32_e32 v8, 23, v3
	v_ashrrev_i32_e32 v2, 31, v7
	s_delay_alu instid0(VALU_DEP_4) | instskip(NEXT) | instid1(VALU_DEP_4)
	v_and_b32_e32 v1, v1, v9
	v_xor_b32_e32 v5, s0, v5
	s_delay_alu instid0(VALU_DEP_4)
	v_not_b32_e32 v7, v8
	v_cmp_gt_i32_e64 s0, 0, v8
	v_xor_b32_e32 v2, s1, v2
	s_mov_b32 s1, exec_lo
	v_and_b32_e32 v1, v1, v5
	v_ashrrev_i32_e32 v5, 31, v7
	s_delay_alu instid0(VALU_DEP_2) | instskip(NEXT) | instid1(VALU_DEP_2)
	v_and_b32_e32 v1, v1, v2
	v_xor_b32_e32 v2, s0, v5
	s_delay_alu instid0(VALU_DEP_1) | instskip(NEXT) | instid1(VALU_DEP_1)
	v_and_b32_e32 v1, v1, v2
	v_mbcnt_lo_u32_b32 v2, v1, 0
	s_delay_alu instid0(VALU_DEP_1)
	v_cmpx_eq_u32_e32 0, v2
	s_cbranch_execz .LBB24_8
; %bb.7:
	v_lshlrev_b32_e32 v2, 2, v3
	v_bcnt_u32_b32 v1, v1, 0
	ds_add_u32 v2, v1
.LBB24_8:
	s_or_b32 exec_lo, exec_lo, s1
	v_and_b32_e32 v1, 1, v4
	v_lshlrev_b32_e32 v2, 30, v4
	v_lshlrev_b32_e32 v3, 29, v4
	;; [unrolled: 1-line block ×4, first 2 shown]
	v_add_co_u32 v1, s0, v1, -1
	s_delay_alu instid0(VALU_DEP_1)
	v_cndmask_b32_e64 v5, 0, 1, s0
	v_not_b32_e32 v10, v2
	v_cmp_gt_i32_e64 s1, 0, v2
	v_not_b32_e32 v2, v3
	v_lshlrev_b32_e32 v9, 26, v4
	v_cmp_ne_u32_e64 s0, 0, v5
	v_ashrrev_i32_e32 v10, 31, v10
	v_lshlrev_b32_e32 v5, 25, v4
	v_ashrrev_i32_e32 v2, 31, v2
	s_delay_alu instid0(VALU_DEP_4)
	v_xor_b32_e32 v1, s0, v1
	v_cmp_gt_i32_e64 s0, 0, v3
	v_not_b32_e32 v3, v7
	v_xor_b32_e32 v10, s1, v10
	v_cmp_gt_i32_e64 s1, 0, v7
	v_and_b32_e32 v1, exec_lo, v1
	v_not_b32_e32 v7, v8
	v_ashrrev_i32_e32 v3, 31, v3
	v_xor_b32_e32 v2, s0, v2
	v_cmp_gt_i32_e64 s0, 0, v8
	v_and_b32_e32 v1, v1, v10
	v_not_b32_e32 v8, v9
	v_ashrrev_i32_e32 v7, 31, v7
	v_xor_b32_e32 v3, s1, v3
	v_cmp_gt_i32_e64 s1, 0, v9
	v_and_b32_e32 v1, v1, v2
	v_lshlrev_b32_e32 v2, 24, v4
	v_ashrrev_i32_e32 v8, 31, v8
	v_xor_b32_e32 v7, s0, v7
	v_cmp_gt_i32_e64 s0, 0, v5
	v_and_b32_e32 v1, v1, v3
	v_not_b32_e32 v3, v5
	v_not_b32_e32 v5, v2
	v_xor_b32_e32 v8, s1, v8
	v_cmp_gt_i32_e64 s1, 0, v2
	v_and_b32_e32 v1, v1, v7
	v_ashrrev_i32_e32 v3, 31, v3
	v_lshlrev_b32_e32 v7, 23, v4
	v_ashrrev_i32_e32 v2, 31, v5
	s_delay_alu instid0(VALU_DEP_4) | instskip(NEXT) | instid1(VALU_DEP_4)
	v_and_b32_e32 v1, v1, v8
	v_xor_b32_e32 v3, s0, v3
	s_delay_alu instid0(VALU_DEP_4)
	v_not_b32_e32 v5, v7
	v_cmp_gt_i32_e64 s0, 0, v7
	v_xor_b32_e32 v2, s1, v2
	s_mov_b32 s1, exec_lo
	v_and_b32_e32 v1, v1, v3
	v_ashrrev_i32_e32 v3, 31, v5
	s_delay_alu instid0(VALU_DEP_2) | instskip(NEXT) | instid1(VALU_DEP_2)
	v_and_b32_e32 v1, v1, v2
	v_xor_b32_e32 v2, s0, v3
	s_delay_alu instid0(VALU_DEP_1) | instskip(NEXT) | instid1(VALU_DEP_1)
	v_and_b32_e32 v1, v1, v2
	v_mbcnt_lo_u32_b32 v2, v1, 0
	s_delay_alu instid0(VALU_DEP_1)
	v_cmpx_eq_u32_e32 0, v2
	s_cbranch_execz .LBB24_10
; %bb.9:
	v_lshlrev_b32_e32 v2, 2, v4
	v_bcnt_u32_b32 v1, v1, 0
	ds_add_u32 v2, v1
.LBB24_10:
	s_or_b32 exec_lo, exec_lo, s1
	s_waitcnt lgkmcnt(0)
	s_barrier
	buffer_gl0_inv
	s_barrier
	buffer_gl0_inv
	s_and_saveexec_b32 s0, vcc_lo
	s_cbranch_execz .LBB24_12
; %bb.11:
	ds_load_b32 v2, v6
	v_lshl_or_b32 v0, s15, 9, v0
	v_mov_b32_e32 v1, 0
	s_delay_alu instid0(VALU_DEP_1) | instskip(NEXT) | instid1(VALU_DEP_1)
	v_lshlrev_b64 v[0:1], 2, v[0:1]
	v_add_co_u32 v0, vcc_lo, s2, v0
	s_delay_alu instid0(VALU_DEP_2)
	v_add_co_ci_u32_e32 v1, vcc_lo, s3, v1, vcc_lo
	s_waitcnt lgkmcnt(0)
	global_store_b32 v[0:1], v2, off
.LBB24_12:
	s_nop 0
	s_sendmsg sendmsg(MSG_DEALLOC_VGPRS)
	s_endpgm
	.section	.rodata,"a",@progbits
	.p2align	6, 0x0
	.amdhsa_kernel _Z16histogram_kernelILj512ELj4ELj512ELN6hipcub23BlockHistogramAlgorithmE0EjEvPT3_S3_
		.amdhsa_group_segment_fixed_size 2048
		.amdhsa_private_segment_fixed_size 0
		.amdhsa_kernarg_size 16
		.amdhsa_user_sgpr_count 15
		.amdhsa_user_sgpr_dispatch_ptr 0
		.amdhsa_user_sgpr_queue_ptr 0
		.amdhsa_user_sgpr_kernarg_segment_ptr 1
		.amdhsa_user_sgpr_dispatch_id 0
		.amdhsa_user_sgpr_private_segment_size 0
		.amdhsa_wavefront_size32 1
		.amdhsa_uses_dynamic_stack 0
		.amdhsa_enable_private_segment 0
		.amdhsa_system_sgpr_workgroup_id_x 1
		.amdhsa_system_sgpr_workgroup_id_y 0
		.amdhsa_system_sgpr_workgroup_id_z 0
		.amdhsa_system_sgpr_workgroup_info 0
		.amdhsa_system_vgpr_workitem_id 0
		.amdhsa_next_free_vgpr 14
		.amdhsa_next_free_sgpr 16
		.amdhsa_reserve_vcc 1
		.amdhsa_float_round_mode_32 0
		.amdhsa_float_round_mode_16_64 0
		.amdhsa_float_denorm_mode_32 3
		.amdhsa_float_denorm_mode_16_64 3
		.amdhsa_dx10_clamp 1
		.amdhsa_ieee_mode 1
		.amdhsa_fp16_overflow 0
		.amdhsa_workgroup_processor_mode 1
		.amdhsa_memory_ordered 1
		.amdhsa_forward_progress 0
		.amdhsa_shared_vgpr_count 0
		.amdhsa_exception_fp_ieee_invalid_op 0
		.amdhsa_exception_fp_denorm_src 0
		.amdhsa_exception_fp_ieee_div_zero 0
		.amdhsa_exception_fp_ieee_overflow 0
		.amdhsa_exception_fp_ieee_underflow 0
		.amdhsa_exception_fp_ieee_inexact 0
		.amdhsa_exception_int_div_zero 0
	.end_amdhsa_kernel
	.section	.text._Z16histogram_kernelILj512ELj4ELj512ELN6hipcub23BlockHistogramAlgorithmE0EjEvPT3_S3_,"axG",@progbits,_Z16histogram_kernelILj512ELj4ELj512ELN6hipcub23BlockHistogramAlgorithmE0EjEvPT3_S3_,comdat
.Lfunc_end24:
	.size	_Z16histogram_kernelILj512ELj4ELj512ELN6hipcub23BlockHistogramAlgorithmE0EjEvPT3_S3_, .Lfunc_end24-_Z16histogram_kernelILj512ELj4ELj512ELN6hipcub23BlockHistogramAlgorithmE0EjEvPT3_S3_
                                        ; -- End function
	.section	.AMDGPU.csdata,"",@progbits
; Kernel info:
; codeLenInByte = 1532
; NumSgprs: 18
; NumVgprs: 14
; ScratchSize: 0
; MemoryBound: 0
; FloatMode: 240
; IeeeMode: 1
; LDSByteSize: 2048 bytes/workgroup (compile time only)
; SGPRBlocks: 2
; VGPRBlocks: 1
; NumSGPRsForWavesPerEU: 18
; NumVGPRsForWavesPerEU: 14
; Occupancy: 16
; WaveLimiterHint : 0
; COMPUTE_PGM_RSRC2:SCRATCH_EN: 0
; COMPUTE_PGM_RSRC2:USER_SGPR: 15
; COMPUTE_PGM_RSRC2:TRAP_HANDLER: 0
; COMPUTE_PGM_RSRC2:TGID_X_EN: 1
; COMPUTE_PGM_RSRC2:TGID_Y_EN: 0
; COMPUTE_PGM_RSRC2:TGID_Z_EN: 0
; COMPUTE_PGM_RSRC2:TIDIG_COMP_CNT: 0
	.section	.text._Z16histogram_kernelILj256ELj3ELj512ELN6hipcub23BlockHistogramAlgorithmE0EjEvPT3_S3_,"axG",@progbits,_Z16histogram_kernelILj256ELj3ELj512ELN6hipcub23BlockHistogramAlgorithmE0EjEvPT3_S3_,comdat
	.protected	_Z16histogram_kernelILj256ELj3ELj512ELN6hipcub23BlockHistogramAlgorithmE0EjEvPT3_S3_ ; -- Begin function _Z16histogram_kernelILj256ELj3ELj512ELN6hipcub23BlockHistogramAlgorithmE0EjEvPT3_S3_
	.globl	_Z16histogram_kernelILj256ELj3ELj512ELN6hipcub23BlockHistogramAlgorithmE0EjEvPT3_S3_
	.p2align	8
	.type	_Z16histogram_kernelILj256ELj3ELj512ELN6hipcub23BlockHistogramAlgorithmE0EjEvPT3_S3_,@function
_Z16histogram_kernelILj256ELj3ELj512ELN6hipcub23BlockHistogramAlgorithmE0EjEvPT3_S3_: ; @_Z16histogram_kernelILj256ELj3ELj512ELN6hipcub23BlockHistogramAlgorithmE0EjEvPT3_S3_
; %bb.0:
	s_load_b128 s[4:7], s[0:1], 0x0
	v_lshl_or_b32 v1, s15, 8, v0
	v_cmp_gt_u32_e64 s0, 0x200, v0
	s_delay_alu instid0(VALU_DEP_2) | instskip(NEXT) | instid1(VALU_DEP_1)
	v_lshl_add_u32 v1, v1, 1, v1
	v_dual_mov_b32 v2, 0 :: v_dual_add_nc_u32 v3, 1, v1
	s_delay_alu instid0(VALU_DEP_1) | instskip(SKIP_2) | instid1(VALU_DEP_3)
	v_mov_b32_e32 v4, v2
	v_lshlrev_b64 v[5:6], 2, v[1:2]
	v_add_nc_u32_e32 v1, 2, v1
	v_lshlrev_b64 v[3:4], 2, v[3:4]
	s_delay_alu instid0(VALU_DEP_2) | instskip(SKIP_1) | instid1(VALU_DEP_4)
	v_lshlrev_b64 v[7:8], 2, v[1:2]
	s_waitcnt lgkmcnt(0)
	v_add_co_u32 v5, vcc_lo, s4, v5
	v_add_co_ci_u32_e32 v6, vcc_lo, s5, v6, vcc_lo
	s_delay_alu instid0(VALU_DEP_4)
	v_add_co_u32 v3, vcc_lo, s4, v3
	v_add_co_ci_u32_e32 v4, vcc_lo, s5, v4, vcc_lo
	v_add_co_u32 v7, vcc_lo, s4, v7
	v_add_co_ci_u32_e32 v8, vcc_lo, s5, v8, vcc_lo
	s_clause 0x2
	global_load_b32 v5, v[5:6], off
	global_load_b32 v4, v[3:4], off
	;; [unrolled: 1-line block ×3, first 2 shown]
	v_lshlrev_b32_e32 v1, 2, v0
	s_and_saveexec_b32 s1, s0
	s_cbranch_execz .LBB25_2
; %bb.1:
	ds_store_b32 v1, v2
.LBB25_2:
	s_or_b32 exec_lo, exec_lo, s1
	v_cmp_gt_u32_e32 vcc_lo, 0x100, v0
	s_and_saveexec_b32 s1, vcc_lo
	s_cbranch_execz .LBB25_4
; %bb.3:
	v_mov_b32_e32 v2, 0
	ds_store_b32 v1, v2 offset:1024
.LBB25_4:
	s_or_b32 exec_lo, exec_lo, s1
	s_waitcnt vmcnt(2)
	v_and_b32_e32 v2, 1, v5
	v_lshlrev_b32_e32 v6, 30, v5
	v_lshlrev_b32_e32 v7, 29, v5
	;; [unrolled: 1-line block ×4, first 2 shown]
	v_add_co_u32 v2, s1, v2, -1
	s_delay_alu instid0(VALU_DEP_1)
	v_cndmask_b32_e64 v8, 0, 1, s1
	v_not_b32_e32 v12, v6
	v_cmp_gt_i32_e64 s2, 0, v6
	v_not_b32_e32 v6, v7
	v_lshlrev_b32_e32 v11, 26, v5
	v_cmp_ne_u32_e64 s1, 0, v8
	v_ashrrev_i32_e32 v12, 31, v12
	v_lshlrev_b32_e32 v8, 25, v5
	v_ashrrev_i32_e32 v6, 31, v6
	s_waitcnt vmcnt(0) lgkmcnt(0)
	v_xor_b32_e32 v2, s1, v2
	v_cmp_gt_i32_e64 s1, 0, v7
	v_not_b32_e32 v7, v9
	v_xor_b32_e32 v12, s2, v12
	v_cmp_gt_i32_e64 s2, 0, v9
	v_and_b32_e32 v2, exec_lo, v2
	v_not_b32_e32 v9, v10
	v_ashrrev_i32_e32 v7, 31, v7
	v_xor_b32_e32 v6, s1, v6
	v_cmp_gt_i32_e64 s1, 0, v10
	v_and_b32_e32 v2, v2, v12
	v_not_b32_e32 v10, v11
	v_ashrrev_i32_e32 v9, 31, v9
	v_xor_b32_e32 v7, s2, v7
	v_cmp_gt_i32_e64 s2, 0, v11
	v_and_b32_e32 v2, v2, v6
	v_lshlrev_b32_e32 v6, 24, v5
	v_ashrrev_i32_e32 v10, 31, v10
	v_xor_b32_e32 v9, s1, v9
	v_cmp_gt_i32_e64 s1, 0, v8
	v_and_b32_e32 v2, v2, v7
	v_not_b32_e32 v7, v8
	v_not_b32_e32 v8, v6
	v_xor_b32_e32 v10, s2, v10
	v_cmp_gt_i32_e64 s2, 0, v6
	v_and_b32_e32 v2, v2, v9
	v_ashrrev_i32_e32 v7, 31, v7
	v_lshlrev_b32_e32 v9, 23, v5
	v_ashrrev_i32_e32 v6, 31, v8
	s_barrier
	v_and_b32_e32 v2, v2, v10
	v_xor_b32_e32 v7, s1, v7
	v_not_b32_e32 v8, v9
	v_cmp_gt_i32_e64 s1, 0, v9
	v_xor_b32_e32 v6, s2, v6
	s_mov_b32 s2, exec_lo
	v_and_b32_e32 v2, v2, v7
	v_ashrrev_i32_e32 v7, 31, v8
	buffer_gl0_inv
	v_and_b32_e32 v2, v2, v6
	v_xor_b32_e32 v6, s1, v7
	s_delay_alu instid0(VALU_DEP_1) | instskip(NEXT) | instid1(VALU_DEP_1)
	v_and_b32_e32 v2, v2, v6
	v_mbcnt_lo_u32_b32 v6, v2, 0
	s_delay_alu instid0(VALU_DEP_1)
	v_cmpx_eq_u32_e32 0, v6
	s_cbranch_execz .LBB25_6
; %bb.5:
	v_lshlrev_b32_e32 v5, 2, v5
	v_bcnt_u32_b32 v2, v2, 0
	ds_add_u32 v5, v2
.LBB25_6:
	s_or_b32 exec_lo, exec_lo, s2
	v_and_b32_e32 v2, 1, v4
	v_lshlrev_b32_e32 v5, 30, v4
	v_lshlrev_b32_e32 v6, 29, v4
	;; [unrolled: 1-line block ×4, first 2 shown]
	v_add_co_u32 v2, s1, v2, -1
	s_delay_alu instid0(VALU_DEP_1)
	v_cndmask_b32_e64 v7, 0, 1, s1
	v_not_b32_e32 v11, v5
	v_cmp_gt_i32_e64 s2, 0, v5
	v_not_b32_e32 v5, v6
	v_lshlrev_b32_e32 v10, 26, v4
	v_cmp_ne_u32_e64 s1, 0, v7
	v_ashrrev_i32_e32 v11, 31, v11
	v_lshlrev_b32_e32 v7, 25, v4
	v_ashrrev_i32_e32 v5, 31, v5
	s_delay_alu instid0(VALU_DEP_4)
	v_xor_b32_e32 v2, s1, v2
	v_cmp_gt_i32_e64 s1, 0, v6
	v_not_b32_e32 v6, v8
	v_xor_b32_e32 v11, s2, v11
	v_cmp_gt_i32_e64 s2, 0, v8
	v_and_b32_e32 v2, exec_lo, v2
	v_not_b32_e32 v8, v9
	v_ashrrev_i32_e32 v6, 31, v6
	v_xor_b32_e32 v5, s1, v5
	v_cmp_gt_i32_e64 s1, 0, v9
	v_and_b32_e32 v2, v2, v11
	v_not_b32_e32 v9, v10
	v_ashrrev_i32_e32 v8, 31, v8
	v_xor_b32_e32 v6, s2, v6
	v_cmp_gt_i32_e64 s2, 0, v10
	v_and_b32_e32 v2, v2, v5
	v_lshlrev_b32_e32 v5, 24, v4
	v_ashrrev_i32_e32 v9, 31, v9
	v_xor_b32_e32 v8, s1, v8
	v_cmp_gt_i32_e64 s1, 0, v7
	v_and_b32_e32 v2, v2, v6
	v_not_b32_e32 v6, v7
	v_not_b32_e32 v7, v5
	v_xor_b32_e32 v9, s2, v9
	v_cmp_gt_i32_e64 s2, 0, v5
	v_and_b32_e32 v2, v2, v8
	v_ashrrev_i32_e32 v6, 31, v6
	v_lshlrev_b32_e32 v8, 23, v4
	v_ashrrev_i32_e32 v5, 31, v7
	s_delay_alu instid0(VALU_DEP_4) | instskip(NEXT) | instid1(VALU_DEP_4)
	v_and_b32_e32 v2, v2, v9
	v_xor_b32_e32 v6, s1, v6
	s_delay_alu instid0(VALU_DEP_4)
	v_not_b32_e32 v7, v8
	v_cmp_gt_i32_e64 s1, 0, v8
	v_xor_b32_e32 v5, s2, v5
	s_mov_b32 s2, exec_lo
	v_and_b32_e32 v2, v2, v6
	v_ashrrev_i32_e32 v6, 31, v7
	s_delay_alu instid0(VALU_DEP_2) | instskip(NEXT) | instid1(VALU_DEP_2)
	v_and_b32_e32 v2, v2, v5
	v_xor_b32_e32 v5, s1, v6
	s_delay_alu instid0(VALU_DEP_1) | instskip(NEXT) | instid1(VALU_DEP_1)
	v_and_b32_e32 v2, v2, v5
	v_mbcnt_lo_u32_b32 v5, v2, 0
	s_delay_alu instid0(VALU_DEP_1)
	v_cmpx_eq_u32_e32 0, v5
	s_cbranch_execz .LBB25_8
; %bb.7:
	v_lshlrev_b32_e32 v4, 2, v4
	v_bcnt_u32_b32 v2, v2, 0
	ds_add_u32 v4, v2
.LBB25_8:
	s_or_b32 exec_lo, exec_lo, s2
	v_and_b32_e32 v2, 1, v3
	v_lshlrev_b32_e32 v4, 30, v3
	v_lshlrev_b32_e32 v5, 29, v3
	;; [unrolled: 1-line block ×4, first 2 shown]
	v_add_co_u32 v2, s1, v2, -1
	s_delay_alu instid0(VALU_DEP_1)
	v_cndmask_b32_e64 v6, 0, 1, s1
	v_not_b32_e32 v10, v4
	v_cmp_gt_i32_e64 s2, 0, v4
	v_not_b32_e32 v4, v5
	v_lshlrev_b32_e32 v9, 26, v3
	v_cmp_ne_u32_e64 s1, 0, v6
	v_ashrrev_i32_e32 v10, 31, v10
	v_lshlrev_b32_e32 v6, 25, v3
	v_ashrrev_i32_e32 v4, 31, v4
	s_delay_alu instid0(VALU_DEP_4)
	v_xor_b32_e32 v2, s1, v2
	v_cmp_gt_i32_e64 s1, 0, v5
	v_not_b32_e32 v5, v7
	v_xor_b32_e32 v10, s2, v10
	v_cmp_gt_i32_e64 s2, 0, v7
	v_and_b32_e32 v2, exec_lo, v2
	v_not_b32_e32 v7, v8
	v_ashrrev_i32_e32 v5, 31, v5
	v_xor_b32_e32 v4, s1, v4
	v_cmp_gt_i32_e64 s1, 0, v8
	v_and_b32_e32 v2, v2, v10
	v_not_b32_e32 v8, v9
	v_ashrrev_i32_e32 v7, 31, v7
	v_xor_b32_e32 v5, s2, v5
	v_cmp_gt_i32_e64 s2, 0, v9
	v_and_b32_e32 v2, v2, v4
	v_lshlrev_b32_e32 v4, 24, v3
	v_ashrrev_i32_e32 v8, 31, v8
	v_xor_b32_e32 v7, s1, v7
	v_cmp_gt_i32_e64 s1, 0, v6
	v_and_b32_e32 v2, v2, v5
	v_not_b32_e32 v5, v6
	v_not_b32_e32 v6, v4
	v_xor_b32_e32 v8, s2, v8
	v_cmp_gt_i32_e64 s2, 0, v4
	v_and_b32_e32 v2, v2, v7
	v_ashrrev_i32_e32 v5, 31, v5
	v_lshlrev_b32_e32 v7, 23, v3
	v_ashrrev_i32_e32 v4, 31, v6
	s_delay_alu instid0(VALU_DEP_4) | instskip(NEXT) | instid1(VALU_DEP_4)
	v_and_b32_e32 v2, v2, v8
	v_xor_b32_e32 v5, s1, v5
	s_delay_alu instid0(VALU_DEP_4)
	v_not_b32_e32 v6, v7
	v_cmp_gt_i32_e64 s1, 0, v7
	v_xor_b32_e32 v4, s2, v4
	s_mov_b32 s2, exec_lo
	v_and_b32_e32 v2, v2, v5
	v_ashrrev_i32_e32 v5, 31, v6
	s_delay_alu instid0(VALU_DEP_2) | instskip(NEXT) | instid1(VALU_DEP_2)
	v_and_b32_e32 v2, v2, v4
	v_xor_b32_e32 v4, s1, v5
	s_delay_alu instid0(VALU_DEP_1) | instskip(NEXT) | instid1(VALU_DEP_1)
	v_and_b32_e32 v2, v2, v4
	v_mbcnt_lo_u32_b32 v4, v2, 0
	s_delay_alu instid0(VALU_DEP_1)
	v_cmpx_eq_u32_e32 0, v4
	s_cbranch_execz .LBB25_10
; %bb.9:
	v_lshlrev_b32_e32 v3, 2, v3
	v_bcnt_u32_b32 v2, v2, 0
	ds_add_u32 v3, v2
.LBB25_10:
	s_or_b32 exec_lo, exec_lo, s2
	s_lshl_b32 s1, s15, 9
	s_waitcnt lgkmcnt(0)
	v_mov_b32_e32 v2, s1
	s_barrier
	buffer_gl0_inv
	s_barrier
	buffer_gl0_inv
	s_and_saveexec_b32 s2, s0
	s_cbranch_execnz .LBB25_13
; %bb.11:
	s_or_b32 exec_lo, exec_lo, s2
	s_and_saveexec_b32 s0, vcc_lo
	s_cbranch_execnz .LBB25_14
.LBB25_12:
	s_nop 0
	s_sendmsg sendmsg(MSG_DEALLOC_VGPRS)
	s_endpgm
.LBB25_13:
	ds_load_b32 v6, v1
	v_or_b32_e32 v2, s1, v0
	s_bitset1_b32 s1, 8
	v_mov_b32_e32 v3, 0
	s_delay_alu instid0(VALU_DEP_1) | instskip(NEXT) | instid1(VALU_DEP_1)
	v_lshlrev_b64 v[2:3], 2, v[2:3]
	v_add_co_u32 v4, s0, s6, v2
	v_mov_b32_e32 v2, s1
	s_delay_alu instid0(VALU_DEP_3)
	v_add_co_ci_u32_e64 v5, s0, s7, v3, s0
	s_waitcnt lgkmcnt(0)
	global_store_b32 v[4:5], v6, off
	s_or_b32 exec_lo, exec_lo, s2
	s_and_saveexec_b32 s0, vcc_lo
	s_cbranch_execz .LBB25_12
.LBB25_14:
	ds_load_b32 v3, v1 offset:1024
	v_dual_mov_b32 v1, 0 :: v_dual_add_nc_u32 v0, v2, v0
	s_delay_alu instid0(VALU_DEP_1) | instskip(NEXT) | instid1(VALU_DEP_1)
	v_lshlrev_b64 v[0:1], 2, v[0:1]
	v_add_co_u32 v0, vcc_lo, s6, v0
	s_delay_alu instid0(VALU_DEP_2)
	v_add_co_ci_u32_e32 v1, vcc_lo, s7, v1, vcc_lo
	s_waitcnt lgkmcnt(0)
	global_store_b32 v[0:1], v3, off
	s_nop 0
	s_sendmsg sendmsg(MSG_DEALLOC_VGPRS)
	s_endpgm
	.section	.rodata,"a",@progbits
	.p2align	6, 0x0
	.amdhsa_kernel _Z16histogram_kernelILj256ELj3ELj512ELN6hipcub23BlockHistogramAlgorithmE0EjEvPT3_S3_
		.amdhsa_group_segment_fixed_size 2048
		.amdhsa_private_segment_fixed_size 0
		.amdhsa_kernarg_size 16
		.amdhsa_user_sgpr_count 15
		.amdhsa_user_sgpr_dispatch_ptr 0
		.amdhsa_user_sgpr_queue_ptr 0
		.amdhsa_user_sgpr_kernarg_segment_ptr 1
		.amdhsa_user_sgpr_dispatch_id 0
		.amdhsa_user_sgpr_private_segment_size 0
		.amdhsa_wavefront_size32 1
		.amdhsa_uses_dynamic_stack 0
		.amdhsa_enable_private_segment 0
		.amdhsa_system_sgpr_workgroup_id_x 1
		.amdhsa_system_sgpr_workgroup_id_y 0
		.amdhsa_system_sgpr_workgroup_id_z 0
		.amdhsa_system_sgpr_workgroup_info 0
		.amdhsa_system_vgpr_workitem_id 0
		.amdhsa_next_free_vgpr 13
		.amdhsa_next_free_sgpr 16
		.amdhsa_reserve_vcc 1
		.amdhsa_float_round_mode_32 0
		.amdhsa_float_round_mode_16_64 0
		.amdhsa_float_denorm_mode_32 3
		.amdhsa_float_denorm_mode_16_64 3
		.amdhsa_dx10_clamp 1
		.amdhsa_ieee_mode 1
		.amdhsa_fp16_overflow 0
		.amdhsa_workgroup_processor_mode 1
		.amdhsa_memory_ordered 1
		.amdhsa_forward_progress 0
		.amdhsa_shared_vgpr_count 0
		.amdhsa_exception_fp_ieee_invalid_op 0
		.amdhsa_exception_fp_denorm_src 0
		.amdhsa_exception_fp_ieee_div_zero 0
		.amdhsa_exception_fp_ieee_overflow 0
		.amdhsa_exception_fp_ieee_underflow 0
		.amdhsa_exception_fp_ieee_inexact 0
		.amdhsa_exception_int_div_zero 0
	.end_amdhsa_kernel
	.section	.text._Z16histogram_kernelILj256ELj3ELj512ELN6hipcub23BlockHistogramAlgorithmE0EjEvPT3_S3_,"axG",@progbits,_Z16histogram_kernelILj256ELj3ELj512ELN6hipcub23BlockHistogramAlgorithmE0EjEvPT3_S3_,comdat
.Lfunc_end25:
	.size	_Z16histogram_kernelILj256ELj3ELj512ELN6hipcub23BlockHistogramAlgorithmE0EjEvPT3_S3_, .Lfunc_end25-_Z16histogram_kernelILj256ELj3ELj512ELN6hipcub23BlockHistogramAlgorithmE0EjEvPT3_S3_
                                        ; -- End function
	.section	.AMDGPU.csdata,"",@progbits
; Kernel info:
; codeLenInByte = 1432
; NumSgprs: 18
; NumVgprs: 13
; ScratchSize: 0
; MemoryBound: 0
; FloatMode: 240
; IeeeMode: 1
; LDSByteSize: 2048 bytes/workgroup (compile time only)
; SGPRBlocks: 2
; VGPRBlocks: 1
; NumSGPRsForWavesPerEU: 18
; NumVGPRsForWavesPerEU: 13
; Occupancy: 16
; WaveLimiterHint : 0
; COMPUTE_PGM_RSRC2:SCRATCH_EN: 0
; COMPUTE_PGM_RSRC2:USER_SGPR: 15
; COMPUTE_PGM_RSRC2:TRAP_HANDLER: 0
; COMPUTE_PGM_RSRC2:TGID_X_EN: 1
; COMPUTE_PGM_RSRC2:TGID_Y_EN: 0
; COMPUTE_PGM_RSRC2:TGID_Z_EN: 0
; COMPUTE_PGM_RSRC2:TIDIG_COMP_CNT: 0
	.section	.text._Z16histogram_kernelILj32ELj2ELj64ELN6hipcub23BlockHistogramAlgorithmE0EjEvPT3_S3_,"axG",@progbits,_Z16histogram_kernelILj32ELj2ELj64ELN6hipcub23BlockHistogramAlgorithmE0EjEvPT3_S3_,comdat
	.protected	_Z16histogram_kernelILj32ELj2ELj64ELN6hipcub23BlockHistogramAlgorithmE0EjEvPT3_S3_ ; -- Begin function _Z16histogram_kernelILj32ELj2ELj64ELN6hipcub23BlockHistogramAlgorithmE0EjEvPT3_S3_
	.globl	_Z16histogram_kernelILj32ELj2ELj64ELN6hipcub23BlockHistogramAlgorithmE0EjEvPT3_S3_
	.p2align	8
	.type	_Z16histogram_kernelILj32ELj2ELj64ELN6hipcub23BlockHistogramAlgorithmE0EjEvPT3_S3_,@function
_Z16histogram_kernelILj32ELj2ELj64ELN6hipcub23BlockHistogramAlgorithmE0EjEvPT3_S3_: ; @_Z16histogram_kernelILj32ELj2ELj64ELN6hipcub23BlockHistogramAlgorithmE0EjEvPT3_S3_
; %bb.0:
	s_load_b128 s[4:7], s[0:1], 0x0
	s_lshl_b32 s3, s15, 6
	v_dual_mov_b32 v3, 0 :: v_dual_lshlrev_b32 v4, 2, v0
	v_lshl_or_b32 v2, v0, 1, s3
	v_cmp_gt_u32_e64 s0, 64, v0
	s_delay_alu instid0(VALU_DEP_2) | instskip(SKIP_1) | instid1(VALU_DEP_1)
	v_lshlrev_b64 v[1:2], 2, v[2:3]
	s_waitcnt lgkmcnt(0)
	v_add_co_u32 v1, vcc_lo, s4, v1
	s_delay_alu instid0(VALU_DEP_2)
	v_add_co_ci_u32_e32 v2, vcc_lo, s5, v2, vcc_lo
	global_load_b64 v[1:2], v[1:2], off
	s_and_saveexec_b32 s1, s0
	s_cbranch_execz .LBB26_2
; %bb.1:
	ds_store_b32 v4, v3
.LBB26_2:
	s_or_b32 exec_lo, exec_lo, s1
	v_cmp_gt_u32_e32 vcc_lo, 32, v0
	s_and_saveexec_b32 s1, vcc_lo
	s_cbranch_execz .LBB26_4
; %bb.3:
	v_mov_b32_e32 v3, 0
	ds_store_b32 v4, v3 offset:128
.LBB26_4:
	s_or_b32 exec_lo, exec_lo, s1
	s_waitcnt vmcnt(0)
	v_and_b32_e32 v3, 1, v1
	v_lshlrev_b32_e32 v5, 30, v1
	v_lshlrev_b32_e32 v7, 29, v1
	;; [unrolled: 1-line block ×3, first 2 shown]
	s_waitcnt lgkmcnt(0)
	v_add_co_u32 v3, s1, v3, -1
	s_delay_alu instid0(VALU_DEP_1)
	v_cndmask_b32_e64 v6, 0, 1, s1
	v_not_b32_e32 v9, v5
	v_cmp_gt_i32_e64 s2, 0, v5
	v_not_b32_e32 v5, v7
	; wave barrier
	buffer_gl0_inv
	v_cmp_ne_u32_e64 s1, 0, v6
	v_ashrrev_i32_e32 v9, 31, v9
	v_lshlrev_b32_e32 v6, 27, v1
	v_ashrrev_i32_e32 v5, 31, v5
	s_delay_alu instid0(VALU_DEP_4)
	v_xor_b32_e32 v3, s1, v3
	v_cmp_gt_i32_e64 s1, 0, v7
	v_not_b32_e32 v7, v8
	v_xor_b32_e32 v9, s2, v9
	v_cmp_gt_i32_e64 s2, 0, v8
	v_and_b32_e32 v3, exec_lo, v3
	v_not_b32_e32 v8, v6
	v_ashrrev_i32_e32 v7, 31, v7
	v_xor_b32_e32 v5, s1, v5
	v_cmp_gt_i32_e64 s1, 0, v6
	v_and_b32_e32 v3, v3, v9
	v_lshlrev_b32_e32 v9, 26, v1
	v_ashrrev_i32_e32 v6, 31, v8
	v_xor_b32_e32 v7, s2, v7
	s_delay_alu instid0(VALU_DEP_4) | instskip(NEXT) | instid1(VALU_DEP_4)
	v_and_b32_e32 v3, v3, v5
	v_not_b32_e32 v5, v9
	v_cmp_gt_i32_e64 s2, 0, v9
	v_xor_b32_e32 v6, s1, v6
	s_delay_alu instid0(VALU_DEP_4) | instskip(NEXT) | instid1(VALU_DEP_4)
	v_and_b32_e32 v3, v3, v7
	v_ashrrev_i32_e32 v5, 31, v5
	s_delay_alu instid0(VALU_DEP_2) | instskip(NEXT) | instid1(VALU_DEP_2)
	v_and_b32_e32 v3, v3, v6
	v_xor_b32_e32 v5, s2, v5
	s_mov_b32 s2, exec_lo
	s_delay_alu instid0(VALU_DEP_1) | instskip(NEXT) | instid1(VALU_DEP_1)
	v_and_b32_e32 v3, v3, v5
	v_mbcnt_lo_u32_b32 v5, v3, 0
	s_delay_alu instid0(VALU_DEP_1)
	v_cmpx_eq_u32_e32 0, v5
	s_cbranch_execz .LBB26_6
; %bb.5:
	v_lshlrev_b32_e32 v1, 2, v1
	v_bcnt_u32_b32 v3, v3, 0
	ds_add_u32 v1, v3
.LBB26_6:
	s_or_b32 exec_lo, exec_lo, s2
	v_and_b32_e32 v1, 1, v2
	v_lshlrev_b32_e32 v3, 30, v2
	v_lshlrev_b32_e32 v6, 29, v2
	;; [unrolled: 1-line block ×3, first 2 shown]
	s_delay_alu instid0(VALU_DEP_4) | instskip(NEXT) | instid1(VALU_DEP_1)
	v_add_co_u32 v1, s1, v1, -1
	v_cndmask_b32_e64 v5, 0, 1, s1
	v_not_b32_e32 v8, v3
	v_cmp_gt_i32_e64 s2, 0, v3
	v_not_b32_e32 v3, v6
	s_delay_alu instid0(VALU_DEP_4) | instskip(NEXT) | instid1(VALU_DEP_4)
	v_cmp_ne_u32_e64 s1, 0, v5
	v_ashrrev_i32_e32 v8, 31, v8
	v_lshlrev_b32_e32 v5, 27, v2
	s_delay_alu instid0(VALU_DEP_4) | instskip(NEXT) | instid1(VALU_DEP_4)
	v_ashrrev_i32_e32 v3, 31, v3
	v_xor_b32_e32 v1, s1, v1
	v_cmp_gt_i32_e64 s1, 0, v6
	v_not_b32_e32 v6, v7
	v_xor_b32_e32 v8, s2, v8
	v_cmp_gt_i32_e64 s2, 0, v7
	v_and_b32_e32 v1, exec_lo, v1
	v_not_b32_e32 v7, v5
	v_ashrrev_i32_e32 v6, 31, v6
	v_xor_b32_e32 v3, s1, v3
	v_cmp_gt_i32_e64 s1, 0, v5
	v_and_b32_e32 v1, v1, v8
	v_lshlrev_b32_e32 v8, 26, v2
	v_ashrrev_i32_e32 v5, 31, v7
	v_xor_b32_e32 v6, s2, v6
	s_delay_alu instid0(VALU_DEP_4) | instskip(NEXT) | instid1(VALU_DEP_4)
	v_and_b32_e32 v1, v1, v3
	v_not_b32_e32 v3, v8
	v_cmp_gt_i32_e64 s2, 0, v8
	v_xor_b32_e32 v5, s1, v5
	s_delay_alu instid0(VALU_DEP_4) | instskip(NEXT) | instid1(VALU_DEP_4)
	v_and_b32_e32 v1, v1, v6
	v_ashrrev_i32_e32 v3, 31, v3
	s_delay_alu instid0(VALU_DEP_2) | instskip(NEXT) | instid1(VALU_DEP_2)
	v_and_b32_e32 v1, v1, v5
	v_xor_b32_e32 v3, s2, v3
	s_mov_b32 s2, exec_lo
	s_delay_alu instid0(VALU_DEP_1) | instskip(NEXT) | instid1(VALU_DEP_1)
	v_and_b32_e32 v1, v1, v3
	v_mbcnt_lo_u32_b32 v3, v1, 0
	s_delay_alu instid0(VALU_DEP_1)
	v_cmpx_eq_u32_e32 0, v3
	s_cbranch_execz .LBB26_8
; %bb.7:
	v_lshlrev_b32_e32 v2, 2, v2
	v_bcnt_u32_b32 v1, v1, 0
	ds_add_u32 v2, v1
.LBB26_8:
	s_or_b32 exec_lo, exec_lo, s2
	v_mov_b32_e32 v1, s3
	s_waitcnt vmcnt(0) lgkmcnt(0)
	s_waitcnt_vscnt null, 0x0
	; wave barrier
	s_waitcnt lgkmcnt(0)
	buffer_gl0_inv
	s_waitcnt vmcnt(0) lgkmcnt(0)
	s_waitcnt_vscnt null, 0x0
	; wave barrier
	buffer_gl0_inv
	s_and_saveexec_b32 s1, s0
	s_cbranch_execnz .LBB26_11
; %bb.9:
	s_or_b32 exec_lo, exec_lo, s1
	s_and_saveexec_b32 s0, vcc_lo
	s_cbranch_execnz .LBB26_12
.LBB26_10:
	s_nop 0
	s_sendmsg sendmsg(MSG_DEALLOC_VGPRS)
	s_endpgm
.LBB26_11:
	ds_load_b32 v3, v4
	v_or_b32_e32 v1, s3, v0
	s_or_b32 s2, s3, 32
	v_mov_b32_e32 v2, 0
	s_delay_alu instid0(VALU_DEP_1) | instskip(NEXT) | instid1(VALU_DEP_1)
	v_lshlrev_b64 v[1:2], 2, v[1:2]
	v_add_co_u32 v5, s0, s6, v1
	v_mov_b32_e32 v1, s2
	s_delay_alu instid0(VALU_DEP_3)
	v_add_co_ci_u32_e64 v6, s0, s7, v2, s0
	s_waitcnt lgkmcnt(0)
	global_store_b32 v[5:6], v3, off
	s_or_b32 exec_lo, exec_lo, s1
	s_and_saveexec_b32 s0, vcc_lo
	s_cbranch_execz .LBB26_10
.LBB26_12:
	ds_load_b32 v2, v4 offset:128
	v_dual_mov_b32 v1, 0 :: v_dual_add_nc_u32 v0, v1, v0
	s_delay_alu instid0(VALU_DEP_1) | instskip(NEXT) | instid1(VALU_DEP_1)
	v_lshlrev_b64 v[0:1], 2, v[0:1]
	v_add_co_u32 v0, vcc_lo, s6, v0
	s_delay_alu instid0(VALU_DEP_2)
	v_add_co_ci_u32_e32 v1, vcc_lo, s7, v1, vcc_lo
	s_waitcnt lgkmcnt(0)
	global_store_b32 v[0:1], v2, off
	s_nop 0
	s_sendmsg sendmsg(MSG_DEALLOC_VGPRS)
	s_endpgm
	.section	.rodata,"a",@progbits
	.p2align	6, 0x0
	.amdhsa_kernel _Z16histogram_kernelILj32ELj2ELj64ELN6hipcub23BlockHistogramAlgorithmE0EjEvPT3_S3_
		.amdhsa_group_segment_fixed_size 256
		.amdhsa_private_segment_fixed_size 0
		.amdhsa_kernarg_size 16
		.amdhsa_user_sgpr_count 15
		.amdhsa_user_sgpr_dispatch_ptr 0
		.amdhsa_user_sgpr_queue_ptr 0
		.amdhsa_user_sgpr_kernarg_segment_ptr 1
		.amdhsa_user_sgpr_dispatch_id 0
		.amdhsa_user_sgpr_private_segment_size 0
		.amdhsa_wavefront_size32 1
		.amdhsa_uses_dynamic_stack 0
		.amdhsa_enable_private_segment 0
		.amdhsa_system_sgpr_workgroup_id_x 1
		.amdhsa_system_sgpr_workgroup_id_y 0
		.amdhsa_system_sgpr_workgroup_id_z 0
		.amdhsa_system_sgpr_workgroup_info 0
		.amdhsa_system_vgpr_workitem_id 0
		.amdhsa_next_free_vgpr 10
		.amdhsa_next_free_sgpr 16
		.amdhsa_reserve_vcc 1
		.amdhsa_float_round_mode_32 0
		.amdhsa_float_round_mode_16_64 0
		.amdhsa_float_denorm_mode_32 3
		.amdhsa_float_denorm_mode_16_64 3
		.amdhsa_dx10_clamp 1
		.amdhsa_ieee_mode 1
		.amdhsa_fp16_overflow 0
		.amdhsa_workgroup_processor_mode 1
		.amdhsa_memory_ordered 1
		.amdhsa_forward_progress 0
		.amdhsa_shared_vgpr_count 0
		.amdhsa_exception_fp_ieee_invalid_op 0
		.amdhsa_exception_fp_denorm_src 0
		.amdhsa_exception_fp_ieee_div_zero 0
		.amdhsa_exception_fp_ieee_overflow 0
		.amdhsa_exception_fp_ieee_underflow 0
		.amdhsa_exception_fp_ieee_inexact 0
		.amdhsa_exception_int_div_zero 0
	.end_amdhsa_kernel
	.section	.text._Z16histogram_kernelILj32ELj2ELj64ELN6hipcub23BlockHistogramAlgorithmE0EjEvPT3_S3_,"axG",@progbits,_Z16histogram_kernelILj32ELj2ELj64ELN6hipcub23BlockHistogramAlgorithmE0EjEvPT3_S3_,comdat
.Lfunc_end26:
	.size	_Z16histogram_kernelILj32ELj2ELj64ELN6hipcub23BlockHistogramAlgorithmE0EjEvPT3_S3_, .Lfunc_end26-_Z16histogram_kernelILj32ELj2ELj64ELN6hipcub23BlockHistogramAlgorithmE0EjEvPT3_S3_
                                        ; -- End function
	.section	.AMDGPU.csdata,"",@progbits
; Kernel info:
; codeLenInByte = 860
; NumSgprs: 18
; NumVgprs: 10
; ScratchSize: 0
; MemoryBound: 0
; FloatMode: 240
; IeeeMode: 1
; LDSByteSize: 256 bytes/workgroup (compile time only)
; SGPRBlocks: 2
; VGPRBlocks: 1
; NumSGPRsForWavesPerEU: 18
; NumVGPRsForWavesPerEU: 10
; Occupancy: 16
; WaveLimiterHint : 0
; COMPUTE_PGM_RSRC2:SCRATCH_EN: 0
; COMPUTE_PGM_RSRC2:USER_SGPR: 15
; COMPUTE_PGM_RSRC2:TRAP_HANDLER: 0
; COMPUTE_PGM_RSRC2:TGID_X_EN: 1
; COMPUTE_PGM_RSRC2:TGID_Y_EN: 0
; COMPUTE_PGM_RSRC2:TGID_Z_EN: 0
; COMPUTE_PGM_RSRC2:TIDIG_COMP_CNT: 0
	.section	.text._Z16histogram_kernelILj6ELj32ELj18ELN6hipcub23BlockHistogramAlgorithmE0EjEvPT3_S3_,"axG",@progbits,_Z16histogram_kernelILj6ELj32ELj18ELN6hipcub23BlockHistogramAlgorithmE0EjEvPT3_S3_,comdat
	.protected	_Z16histogram_kernelILj6ELj32ELj18ELN6hipcub23BlockHistogramAlgorithmE0EjEvPT3_S3_ ; -- Begin function _Z16histogram_kernelILj6ELj32ELj18ELN6hipcub23BlockHistogramAlgorithmE0EjEvPT3_S3_
	.globl	_Z16histogram_kernelILj6ELj32ELj18ELN6hipcub23BlockHistogramAlgorithmE0EjEvPT3_S3_
	.p2align	8
	.type	_Z16histogram_kernelILj6ELj32ELj18ELN6hipcub23BlockHistogramAlgorithmE0EjEvPT3_S3_,@function
_Z16histogram_kernelILj6ELj32ELj18ELN6hipcub23BlockHistogramAlgorithmE0EjEvPT3_S3_: ; @_Z16histogram_kernelILj6ELj32ELj18ELN6hipcub23BlockHistogramAlgorithmE0EjEvPT3_S3_
; %bb.0:
	s_load_b128 s[4:7], s[0:1], 0x0
	s_mul_i32 s0, s15, 6
	v_dual_mov_b32 v33, 0 :: v_dual_lshlrev_b32 v34, 2, v0
	v_add_lshl_u32 v32, s0, v0, 5
	v_cmp_gt_u32_e64 s1, 18, v0
	s_delay_alu instid0(VALU_DEP_2) | instskip(SKIP_1) | instid1(VALU_DEP_1)
	v_lshlrev_b64 v[1:2], 2, v[32:33]
	s_waitcnt lgkmcnt(0)
	v_add_co_u32 v13, vcc_lo, s4, v1
	s_delay_alu instid0(VALU_DEP_2)
	v_add_co_ci_u32_e32 v14, vcc_lo, s5, v2, vcc_lo
	s_clause 0x7
	global_load_b128 v[17:20], v[13:14], off offset:48
	global_load_b128 v[21:24], v[13:14], off offset:32
	;; [unrolled: 1-line block ×3, first 2 shown]
	global_load_b128 v[29:32], v[13:14], off
	global_load_b128 v[1:4], v[13:14], off offset:112
	global_load_b128 v[5:8], v[13:14], off offset:96
	;; [unrolled: 1-line block ×4, first 2 shown]
	s_and_saveexec_b32 s0, s1
	s_cbranch_execnz .LBB27_72
; %bb.1:
	s_or_b32 exec_lo, exec_lo, s0
	v_cmp_gt_u32_e64 s0, 12, v0
	s_delay_alu instid0(VALU_DEP_1)
	s_and_saveexec_b32 s2, s0
	s_cbranch_execnz .LBB27_73
.LBB27_2:
	s_or_b32 exec_lo, exec_lo, s2
	v_cmp_gt_u32_e32 vcc_lo, 6, v0
	s_and_saveexec_b32 s2, vcc_lo
	s_cbranch_execz .LBB27_4
.LBB27_3:
	v_mov_b32_e32 v33, 0
	ds_store_b32 v34, v33 offset:48
.LBB27_4:
	s_or_b32 exec_lo, exec_lo, s2
	s_waitcnt vmcnt(4)
	v_and_b32_e32 v33, 1, v29
	v_lshlrev_b32_e32 v35, 30, v29
	v_lshlrev_b32_e32 v37, 29, v29
	;; [unrolled: 1-line block ×3, first 2 shown]
	s_waitcnt vmcnt(0) lgkmcnt(0)
	v_add_co_u32 v33, s2, v33, -1
	s_delay_alu instid0(VALU_DEP_1)
	v_cndmask_b32_e64 v36, 0, 1, s2
	v_not_b32_e32 v38, v35
	v_cmp_gt_i32_e64 s3, 0, v35
	v_not_b32_e32 v35, v37
	; wave barrier
	buffer_gl0_inv
	v_cmp_ne_u32_e64 s2, 0, v36
	v_lshlrev_b32_e32 v36, 28, v29
	v_ashrrev_i32_e32 v38, 31, v38
	v_ashrrev_i32_e32 v35, 31, v35
	s_delay_alu instid0(VALU_DEP_4)
	v_xor_b32_e32 v33, s2, v33
	v_cmp_gt_i32_e64 s2, 0, v37
	v_not_b32_e32 v37, v36
	v_xor_b32_e32 v38, s3, v38
	v_cmp_gt_i32_e64 s3, 0, v36
	v_and_b32_e32 v33, exec_lo, v33
	v_xor_b32_e32 v35, s2, v35
	v_ashrrev_i32_e32 v36, 31, v37
	v_not_b32_e32 v37, v39
	v_cmp_gt_i32_e64 s2, 0, v39
	v_and_b32_e32 v33, v33, v38
	s_delay_alu instid0(VALU_DEP_4) | instskip(SKIP_1) | instid1(VALU_DEP_2)
	v_xor_b32_e32 v36, s3, v36
	s_mov_b32 s3, exec_lo
	v_and_b32_e32 v33, v33, v35
	v_ashrrev_i32_e32 v35, 31, v37
	s_delay_alu instid0(VALU_DEP_2) | instskip(NEXT) | instid1(VALU_DEP_2)
	v_and_b32_e32 v33, v33, v36
	v_xor_b32_e32 v35, s2, v35
	s_delay_alu instid0(VALU_DEP_1) | instskip(NEXT) | instid1(VALU_DEP_1)
	v_and_b32_e32 v33, v33, v35
	v_mbcnt_lo_u32_b32 v35, v33, 0
	s_delay_alu instid0(VALU_DEP_1)
	v_cmpx_eq_u32_e32 0, v35
	s_cbranch_execz .LBB27_6
; %bb.5:
	v_lshlrev_b32_e32 v29, 2, v29
	v_bcnt_u32_b32 v33, v33, 0
	ds_add_u32 v29, v33
.LBB27_6:
	s_or_b32 exec_lo, exec_lo, s3
	v_and_b32_e32 v29, 1, v30
	v_lshlrev_b32_e32 v33, 30, v30
	v_lshlrev_b32_e32 v36, 29, v30
	v_lshlrev_b32_e32 v38, 27, v30
	s_delay_alu instid0(VALU_DEP_4) | instskip(NEXT) | instid1(VALU_DEP_1)
	v_add_co_u32 v29, s2, v29, -1
	v_cndmask_b32_e64 v35, 0, 1, s2
	v_not_b32_e32 v37, v33
	v_cmp_gt_i32_e64 s3, 0, v33
	v_not_b32_e32 v33, v36
	s_delay_alu instid0(VALU_DEP_4) | instskip(SKIP_2) | instid1(VALU_DEP_4)
	v_cmp_ne_u32_e64 s2, 0, v35
	v_lshlrev_b32_e32 v35, 28, v30
	v_ashrrev_i32_e32 v37, 31, v37
	v_ashrrev_i32_e32 v33, 31, v33
	s_delay_alu instid0(VALU_DEP_4)
	v_xor_b32_e32 v29, s2, v29
	v_cmp_gt_i32_e64 s2, 0, v36
	v_not_b32_e32 v36, v35
	v_xor_b32_e32 v37, s3, v37
	v_cmp_gt_i32_e64 s3, 0, v35
	v_and_b32_e32 v29, exec_lo, v29
	v_xor_b32_e32 v33, s2, v33
	v_ashrrev_i32_e32 v35, 31, v36
	v_not_b32_e32 v36, v38
	v_cmp_gt_i32_e64 s2, 0, v38
	v_and_b32_e32 v29, v29, v37
	s_delay_alu instid0(VALU_DEP_4) | instskip(SKIP_1) | instid1(VALU_DEP_2)
	v_xor_b32_e32 v35, s3, v35
	s_mov_b32 s3, exec_lo
	v_and_b32_e32 v29, v29, v33
	v_ashrrev_i32_e32 v33, 31, v36
	s_delay_alu instid0(VALU_DEP_2) | instskip(NEXT) | instid1(VALU_DEP_2)
	v_and_b32_e32 v29, v29, v35
	v_xor_b32_e32 v33, s2, v33
	s_delay_alu instid0(VALU_DEP_1) | instskip(NEXT) | instid1(VALU_DEP_1)
	v_and_b32_e32 v29, v29, v33
	v_mbcnt_lo_u32_b32 v33, v29, 0
	s_delay_alu instid0(VALU_DEP_1)
	v_cmpx_eq_u32_e32 0, v33
	s_cbranch_execz .LBB27_8
; %bb.7:
	v_lshlrev_b32_e32 v30, 2, v30
	v_bcnt_u32_b32 v29, v29, 0
	ds_add_u32 v30, v29
.LBB27_8:
	s_or_b32 exec_lo, exec_lo, s3
	v_and_b32_e32 v29, 1, v31
	v_lshlrev_b32_e32 v30, 30, v31
	v_lshlrev_b32_e32 v35, 29, v31
	v_lshlrev_b32_e32 v37, 27, v31
	s_delay_alu instid0(VALU_DEP_4) | instskip(NEXT) | instid1(VALU_DEP_1)
	v_add_co_u32 v29, s2, v29, -1
	v_cndmask_b32_e64 v33, 0, 1, s2
	v_not_b32_e32 v36, v30
	v_cmp_gt_i32_e64 s3, 0, v30
	v_not_b32_e32 v30, v35
	s_delay_alu instid0(VALU_DEP_4) | instskip(SKIP_2) | instid1(VALU_DEP_4)
	;; [unrolled: 47-line block ×31, first 2 shown]
	v_cmp_ne_u32_e64 s2, 0, v3
	v_lshlrev_b32_e32 v3, 28, v4
	v_ashrrev_i32_e32 v6, 31, v6
	v_ashrrev_i32_e32 v2, 31, v2
	s_delay_alu instid0(VALU_DEP_4)
	v_xor_b32_e32 v1, s2, v1
	v_cmp_gt_i32_e64 s2, 0, v5
	v_not_b32_e32 v5, v3
	v_xor_b32_e32 v6, s3, v6
	v_cmp_gt_i32_e64 s3, 0, v3
	v_and_b32_e32 v1, exec_lo, v1
	v_xor_b32_e32 v2, s2, v2
	v_ashrrev_i32_e32 v3, 31, v5
	v_not_b32_e32 v5, v7
	v_cmp_gt_i32_e64 s2, 0, v7
	v_and_b32_e32 v1, v1, v6
	s_delay_alu instid0(VALU_DEP_4) | instskip(SKIP_1) | instid1(VALU_DEP_2)
	v_xor_b32_e32 v3, s3, v3
	s_mov_b32 s3, exec_lo
	v_and_b32_e32 v1, v1, v2
	v_ashrrev_i32_e32 v2, 31, v5
	s_delay_alu instid0(VALU_DEP_2) | instskip(NEXT) | instid1(VALU_DEP_2)
	v_and_b32_e32 v1, v1, v3
	v_xor_b32_e32 v2, s2, v2
	s_delay_alu instid0(VALU_DEP_1) | instskip(NEXT) | instid1(VALU_DEP_1)
	v_and_b32_e32 v1, v1, v2
	v_mbcnt_lo_u32_b32 v2, v1, 0
	s_delay_alu instid0(VALU_DEP_1)
	v_cmpx_eq_u32_e32 0, v2
	s_cbranch_execz .LBB27_68
; %bb.67:
	v_lshlrev_b32_e32 v2, 2, v4
	v_bcnt_u32_b32 v1, v1, 0
	ds_add_u32 v2, v1
.LBB27_68:
	s_or_b32 exec_lo, exec_lo, s3
	s_mul_i32 s2, s15, 18
	s_waitcnt lgkmcnt(0)
	v_mov_b32_e32 v1, s2
	; wave barrier
	buffer_gl0_inv
	s_waitcnt vmcnt(0) lgkmcnt(0)
	s_waitcnt_vscnt null, 0x0
	; wave barrier
	buffer_gl0_inv
	s_and_saveexec_b32 s3, s1
	s_cbranch_execnz .LBB27_74
; %bb.69:
	s_or_b32 exec_lo, exec_lo, s3
	s_and_saveexec_b32 s1, s0
	s_cbranch_execnz .LBB27_75
.LBB27_70:
	s_or_b32 exec_lo, exec_lo, s1
	s_and_saveexec_b32 s0, vcc_lo
	s_cbranch_execnz .LBB27_76
.LBB27_71:
	s_nop 0
	s_sendmsg sendmsg(MSG_DEALLOC_VGPRS)
	s_endpgm
.LBB27_72:
	ds_store_b32 v34, v33
	s_or_b32 exec_lo, exec_lo, s0
	v_cmp_gt_u32_e64 s0, 12, v0
	s_delay_alu instid0(VALU_DEP_1)
	s_and_saveexec_b32 s2, s0
	s_cbranch_execz .LBB27_2
.LBB27_73:
	v_mov_b32_e32 v33, 0
	ds_store_b32 v34, v33 offset:24
	s_or_b32 exec_lo, exec_lo, s2
	v_cmp_gt_u32_e32 vcc_lo, 6, v0
	s_and_saveexec_b32 s2, vcc_lo
	s_cbranch_execnz .LBB27_3
	s_branch .LBB27_4
.LBB27_74:
	ds_load_b32 v5, v34
	v_dual_mov_b32 v2, 0 :: v_dual_add_nc_u32 v1, s2, v0
	s_add_i32 s2, s2, 6
	s_delay_alu instid0(VALU_DEP_1) | instskip(NEXT) | instid1(VALU_DEP_1)
	v_lshlrev_b64 v[1:2], 2, v[1:2]
	v_add_co_u32 v3, s1, s6, v1
	s_delay_alu instid0(VALU_DEP_1)
	v_add_co_ci_u32_e64 v4, s1, s7, v2, s1
	v_mov_b32_e32 v1, s2
	s_waitcnt lgkmcnt(0)
	global_store_b32 v[3:4], v5, off
	s_or_b32 exec_lo, exec_lo, s3
	s_and_saveexec_b32 s1, s0
	s_cbranch_execz .LBB27_70
.LBB27_75:
	ds_load_b32 v4, v34 offset:24
	v_dual_mov_b32 v3, 0 :: v_dual_add_nc_u32 v2, v1, v0
	v_add_nc_u32_e32 v1, 6, v1
	s_delay_alu instid0(VALU_DEP_2) | instskip(NEXT) | instid1(VALU_DEP_1)
	v_lshlrev_b64 v[2:3], 2, v[2:3]
	v_add_co_u32 v2, s0, s6, v2
	s_delay_alu instid0(VALU_DEP_1)
	v_add_co_ci_u32_e64 v3, s0, s7, v3, s0
	s_waitcnt lgkmcnt(0)
	global_store_b32 v[2:3], v4, off
	s_or_b32 exec_lo, exec_lo, s1
	s_and_saveexec_b32 s0, vcc_lo
	s_cbranch_execz .LBB27_71
.LBB27_76:
	ds_load_b32 v2, v34 offset:48
	v_dual_mov_b32 v1, 0 :: v_dual_add_nc_u32 v0, v1, v0
	s_delay_alu instid0(VALU_DEP_1) | instskip(NEXT) | instid1(VALU_DEP_1)
	v_lshlrev_b64 v[0:1], 2, v[0:1]
	v_add_co_u32 v0, vcc_lo, s6, v0
	s_delay_alu instid0(VALU_DEP_2)
	v_add_co_ci_u32_e32 v1, vcc_lo, s7, v1, vcc_lo
	s_waitcnt lgkmcnt(0)
	global_store_b32 v[0:1], v2, off
	s_nop 0
	s_sendmsg sendmsg(MSG_DEALLOC_VGPRS)
	s_endpgm
	.section	.rodata,"a",@progbits
	.p2align	6, 0x0
	.amdhsa_kernel _Z16histogram_kernelILj6ELj32ELj18ELN6hipcub23BlockHistogramAlgorithmE0EjEvPT3_S3_
		.amdhsa_group_segment_fixed_size 72
		.amdhsa_private_segment_fixed_size 0
		.amdhsa_kernarg_size 16
		.amdhsa_user_sgpr_count 15
		.amdhsa_user_sgpr_dispatch_ptr 0
		.amdhsa_user_sgpr_queue_ptr 0
		.amdhsa_user_sgpr_kernarg_segment_ptr 1
		.amdhsa_user_sgpr_dispatch_id 0
		.amdhsa_user_sgpr_private_segment_size 0
		.amdhsa_wavefront_size32 1
		.amdhsa_uses_dynamic_stack 0
		.amdhsa_enable_private_segment 0
		.amdhsa_system_sgpr_workgroup_id_x 1
		.amdhsa_system_sgpr_workgroup_id_y 0
		.amdhsa_system_sgpr_workgroup_id_z 0
		.amdhsa_system_sgpr_workgroup_info 0
		.amdhsa_system_vgpr_workitem_id 0
		.amdhsa_next_free_vgpr 40
		.amdhsa_next_free_sgpr 16
		.amdhsa_reserve_vcc 1
		.amdhsa_float_round_mode_32 0
		.amdhsa_float_round_mode_16_64 0
		.amdhsa_float_denorm_mode_32 3
		.amdhsa_float_denorm_mode_16_64 3
		.amdhsa_dx10_clamp 1
		.amdhsa_ieee_mode 1
		.amdhsa_fp16_overflow 0
		.amdhsa_workgroup_processor_mode 1
		.amdhsa_memory_ordered 1
		.amdhsa_forward_progress 0
		.amdhsa_shared_vgpr_count 0
		.amdhsa_exception_fp_ieee_invalid_op 0
		.amdhsa_exception_fp_denorm_src 0
		.amdhsa_exception_fp_ieee_div_zero 0
		.amdhsa_exception_fp_ieee_overflow 0
		.amdhsa_exception_fp_ieee_underflow 0
		.amdhsa_exception_fp_ieee_inexact 0
		.amdhsa_exception_int_div_zero 0
	.end_amdhsa_kernel
	.section	.text._Z16histogram_kernelILj6ELj32ELj18ELN6hipcub23BlockHistogramAlgorithmE0EjEvPT3_S3_,"axG",@progbits,_Z16histogram_kernelILj6ELj32ELj18ELN6hipcub23BlockHistogramAlgorithmE0EjEvPT3_S3_,comdat
.Lfunc_end27:
	.size	_Z16histogram_kernelILj6ELj32ELj18ELN6hipcub23BlockHistogramAlgorithmE0EjEvPT3_S3_, .Lfunc_end27-_Z16histogram_kernelILj6ELj32ELj18ELN6hipcub23BlockHistogramAlgorithmE0EjEvPT3_S3_
                                        ; -- End function
	.section	.AMDGPU.csdata,"",@progbits
; Kernel info:
; codeLenInByte = 7620
; NumSgprs: 18
; NumVgprs: 40
; ScratchSize: 0
; MemoryBound: 0
; FloatMode: 240
; IeeeMode: 1
; LDSByteSize: 72 bytes/workgroup (compile time only)
; SGPRBlocks: 2
; VGPRBlocks: 4
; NumSGPRsForWavesPerEU: 18
; NumVGPRsForWavesPerEU: 40
; Occupancy: 16
; WaveLimiterHint : 0
; COMPUTE_PGM_RSRC2:SCRATCH_EN: 0
; COMPUTE_PGM_RSRC2:USER_SGPR: 15
; COMPUTE_PGM_RSRC2:TRAP_HANDLER: 0
; COMPUTE_PGM_RSRC2:TGID_X_EN: 1
; COMPUTE_PGM_RSRC2:TGID_Y_EN: 0
; COMPUTE_PGM_RSRC2:TGID_Z_EN: 0
; COMPUTE_PGM_RSRC2:TIDIG_COMP_CNT: 0
	.text
	.p2alignl 7, 3214868480
	.fill 96, 4, 3214868480
	.type	__hip_cuid_40d570712f87ceca,@object ; @__hip_cuid_40d570712f87ceca
	.section	.bss,"aw",@nobits
	.globl	__hip_cuid_40d570712f87ceca
__hip_cuid_40d570712f87ceca:
	.byte	0                               ; 0x0
	.size	__hip_cuid_40d570712f87ceca, 1

	.ident	"AMD clang version 19.0.0git (https://github.com/RadeonOpenCompute/llvm-project roc-6.4.0 25133 c7fe45cf4b819c5991fe208aaa96edf142730f1d)"
	.section	".note.GNU-stack","",@progbits
	.addrsig
	.addrsig_sym __hip_cuid_40d570712f87ceca
	.amdgpu_metadata
---
amdhsa.kernels:
  - .args:
      - .address_space:  global
        .offset:         0
        .size:           8
        .value_kind:     global_buffer
      - .address_space:  global
        .offset:         8
        .size:           8
        .value_kind:     global_buffer
      - .offset:         16
        .size:           4
        .value_kind:     hidden_block_count_x
      - .offset:         20
        .size:           4
        .value_kind:     hidden_block_count_y
      - .offset:         24
        .size:           4
        .value_kind:     hidden_block_count_z
      - .offset:         28
        .size:           2
        .value_kind:     hidden_group_size_x
      - .offset:         30
        .size:           2
        .value_kind:     hidden_group_size_y
      - .offset:         32
        .size:           2
        .value_kind:     hidden_group_size_z
      - .offset:         34
        .size:           2
        .value_kind:     hidden_remainder_x
      - .offset:         36
        .size:           2
        .value_kind:     hidden_remainder_y
      - .offset:         38
        .size:           2
        .value_kind:     hidden_remainder_z
      - .offset:         56
        .size:           8
        .value_kind:     hidden_global_offset_x
      - .offset:         64
        .size:           8
        .value_kind:     hidden_global_offset_y
      - .offset:         72
        .size:           8
        .value_kind:     hidden_global_offset_z
      - .offset:         80
        .size:           2
        .value_kind:     hidden_grid_dims
    .group_segment_fixed_size: 34944
    .kernarg_segment_align: 8
    .kernarg_segment_size: 272
    .language:       OpenCL C
    .language_version:
      - 2
      - 0
    .max_flat_workgroup_size: 1024
    .name:           _Z16histogram_kernelILj1024ELj1ELj1024ELN6hipcub23BlockHistogramAlgorithmE1EtEvPT3_S3_
    .private_segment_fixed_size: 0
    .sgpr_count:     22
    .sgpr_spill_count: 0
    .symbol:         _Z16histogram_kernelILj1024ELj1ELj1024ELN6hipcub23BlockHistogramAlgorithmE1EtEvPT3_S3_.kd
    .uniform_work_group_size: 1
    .uses_dynamic_stack: false
    .vgpr_count:     26
    .vgpr_spill_count: 0
    .wavefront_size: 32
    .workgroup_processor_mode: 1
  - .args:
      - .address_space:  global
        .offset:         0
        .size:           8
        .value_kind:     global_buffer
      - .address_space:  global
        .offset:         8
        .size:           8
        .value_kind:     global_buffer
      - .offset:         16
        .size:           4
        .value_kind:     hidden_block_count_x
      - .offset:         20
        .size:           4
        .value_kind:     hidden_block_count_y
      - .offset:         24
        .size:           4
        .value_kind:     hidden_block_count_z
      - .offset:         28
        .size:           2
        .value_kind:     hidden_group_size_x
      - .offset:         30
        .size:           2
        .value_kind:     hidden_group_size_y
      - .offset:         32
        .size:           2
        .value_kind:     hidden_group_size_z
      - .offset:         34
        .size:           2
        .value_kind:     hidden_remainder_x
      - .offset:         36
        .size:           2
        .value_kind:     hidden_remainder_y
      - .offset:         38
        .size:           2
        .value_kind:     hidden_remainder_z
      - .offset:         56
        .size:           8
        .value_kind:     hidden_global_offset_x
      - .offset:         64
        .size:           8
        .value_kind:     hidden_global_offset_y
      - .offset:         72
        .size:           8
        .value_kind:     hidden_global_offset_z
      - .offset:         80
        .size:           2
        .value_kind:     hidden_grid_dims
    .group_segment_fixed_size: 17472
    .kernarg_segment_align: 8
    .kernarg_segment_size: 272
    .language:       OpenCL C
    .language_version:
      - 2
      - 0
    .max_flat_workgroup_size: 512
    .name:           _Z16histogram_kernelILj512ELj4ELj512ELN6hipcub23BlockHistogramAlgorithmE1EtEvPT3_S3_
    .private_segment_fixed_size: 0
    .sgpr_count:     22
    .sgpr_spill_count: 0
    .symbol:         _Z16histogram_kernelILj512ELj4ELj512ELN6hipcub23BlockHistogramAlgorithmE1EtEvPT3_S3_.kd
    .uniform_work_group_size: 1
    .uses_dynamic_stack: false
    .vgpr_count:     37
    .vgpr_spill_count: 0
    .wavefront_size: 32
    .workgroup_processor_mode: 1
  - .args:
      - .address_space:  global
        .offset:         0
        .size:           8
        .value_kind:     global_buffer
      - .address_space:  global
        .offset:         8
        .size:           8
        .value_kind:     global_buffer
      - .offset:         16
        .size:           4
        .value_kind:     hidden_block_count_x
      - .offset:         20
        .size:           4
        .value_kind:     hidden_block_count_y
      - .offset:         24
        .size:           4
        .value_kind:     hidden_block_count_z
      - .offset:         28
        .size:           2
        .value_kind:     hidden_group_size_x
      - .offset:         30
        .size:           2
        .value_kind:     hidden_group_size_y
      - .offset:         32
        .size:           2
        .value_kind:     hidden_group_size_z
      - .offset:         34
        .size:           2
        .value_kind:     hidden_remainder_x
      - .offset:         36
        .size:           2
        .value_kind:     hidden_remainder_y
      - .offset:         38
        .size:           2
        .value_kind:     hidden_remainder_z
      - .offset:         56
        .size:           8
        .value_kind:     hidden_global_offset_x
      - .offset:         64
        .size:           8
        .value_kind:     hidden_global_offset_y
      - .offset:         72
        .size:           8
        .value_kind:     hidden_global_offset_z
      - .offset:         80
        .size:           2
        .value_kind:     hidden_grid_dims
    .group_segment_fixed_size: 9248
    .kernarg_segment_align: 8
    .kernarg_segment_size: 272
    .language:       OpenCL C
    .language_version:
      - 2
      - 0
    .max_flat_workgroup_size: 256
    .name:           _Z16histogram_kernelILj256ELj3ELj512ELN6hipcub23BlockHistogramAlgorithmE1EtEvPT3_S3_
    .private_segment_fixed_size: 0
    .sgpr_count:     22
    .sgpr_spill_count: 0
    .symbol:         _Z16histogram_kernelILj256ELj3ELj512ELN6hipcub23BlockHistogramAlgorithmE1EtEvPT3_S3_.kd
    .uniform_work_group_size: 1
    .uses_dynamic_stack: false
    .vgpr_count:     33
    .vgpr_spill_count: 0
    .wavefront_size: 32
    .workgroup_processor_mode: 1
  - .args:
      - .address_space:  global
        .offset:         0
        .size:           8
        .value_kind:     global_buffer
      - .address_space:  global
        .offset:         8
        .size:           8
        .value_kind:     global_buffer
      - .offset:         16
        .size:           4
        .value_kind:     hidden_block_count_x
      - .offset:         20
        .size:           4
        .value_kind:     hidden_block_count_y
      - .offset:         24
        .size:           4
        .value_kind:     hidden_block_count_z
      - .offset:         28
        .size:           2
        .value_kind:     hidden_group_size_x
      - .offset:         30
        .size:           2
        .value_kind:     hidden_group_size_y
      - .offset:         32
        .size:           2
        .value_kind:     hidden_group_size_z
      - .offset:         34
        .size:           2
        .value_kind:     hidden_remainder_x
      - .offset:         36
        .size:           2
        .value_kind:     hidden_remainder_y
      - .offset:         38
        .size:           2
        .value_kind:     hidden_remainder_z
      - .offset:         56
        .size:           8
        .value_kind:     hidden_global_offset_x
      - .offset:         64
        .size:           8
        .value_kind:     hidden_global_offset_y
      - .offset:         72
        .size:           8
        .value_kind:     hidden_global_offset_z
      - .offset:         80
        .size:           2
        .value_kind:     hidden_grid_dims
    .group_segment_fixed_size: 1168
    .kernarg_segment_align: 8
    .kernarg_segment_size: 272
    .language:       OpenCL C
    .language_version:
      - 2
      - 0
    .max_flat_workgroup_size: 32
    .name:           _Z16histogram_kernelILj32ELj2ELj64ELN6hipcub23BlockHistogramAlgorithmE1EtEvPT3_S3_
    .private_segment_fixed_size: 0
    .sgpr_count:     22
    .sgpr_spill_count: 0
    .symbol:         _Z16histogram_kernelILj32ELj2ELj64ELN6hipcub23BlockHistogramAlgorithmE1EtEvPT3_S3_.kd
    .uniform_work_group_size: 1
    .uses_dynamic_stack: false
    .vgpr_count:     24
    .vgpr_spill_count: 0
    .wavefront_size: 32
    .workgroup_processor_mode: 1
  - .args:
      - .address_space:  global
        .offset:         0
        .size:           8
        .value_kind:     global_buffer
      - .address_space:  global
        .offset:         8
        .size:           8
        .value_kind:     global_buffer
    .group_segment_fixed_size: 420
    .kernarg_segment_align: 8
    .kernarg_segment_size: 16
    .language:       OpenCL C
    .language_version:
      - 2
      - 0
    .max_flat_workgroup_size: 6
    .name:           _Z16histogram_kernelILj6ELj32ELj18ELN6hipcub23BlockHistogramAlgorithmE1EtEvPT3_S3_
    .private_segment_fixed_size: 0
    .sgpr_count:     18
    .sgpr_spill_count: 0
    .symbol:         _Z16histogram_kernelILj6ELj32ELj18ELN6hipcub23BlockHistogramAlgorithmE1EtEvPT3_S3_.kd
    .uniform_work_group_size: 1
    .uses_dynamic_stack: false
    .vgpr_count:     129
    .vgpr_spill_count: 0
    .wavefront_size: 32
    .workgroup_processor_mode: 1
  - .args:
      - .address_space:  global
        .offset:         0
        .size:           8
        .value_kind:     global_buffer
      - .address_space:  global
        .offset:         8
        .size:           8
        .value_kind:     global_buffer
      - .offset:         16
        .size:           4
        .value_kind:     hidden_block_count_x
      - .offset:         20
        .size:           4
        .value_kind:     hidden_block_count_y
      - .offset:         24
        .size:           4
        .value_kind:     hidden_block_count_z
      - .offset:         28
        .size:           2
        .value_kind:     hidden_group_size_x
      - .offset:         30
        .size:           2
        .value_kind:     hidden_group_size_y
      - .offset:         32
        .size:           2
        .value_kind:     hidden_group_size_z
      - .offset:         34
        .size:           2
        .value_kind:     hidden_remainder_x
      - .offset:         36
        .size:           2
        .value_kind:     hidden_remainder_y
      - .offset:         38
        .size:           2
        .value_kind:     hidden_remainder_z
      - .offset:         56
        .size:           8
        .value_kind:     hidden_global_offset_x
      - .offset:         64
        .size:           8
        .value_kind:     hidden_global_offset_y
      - .offset:         72
        .size:           8
        .value_kind:     hidden_global_offset_z
      - .offset:         80
        .size:           2
        .value_kind:     hidden_grid_dims
    .group_segment_fixed_size: 33920
    .kernarg_segment_align: 8
    .kernarg_segment_size: 272
    .language:       OpenCL C
    .language_version:
      - 2
      - 0
    .max_flat_workgroup_size: 1024
    .name:           _Z16histogram_kernelILj1024ELj1ELj1024ELN6hipcub23BlockHistogramAlgorithmE1EhEvPT3_S3_
    .private_segment_fixed_size: 0
    .sgpr_count:     18
    .sgpr_spill_count: 0
    .symbol:         _Z16histogram_kernelILj1024ELj1ELj1024ELN6hipcub23BlockHistogramAlgorithmE1EhEvPT3_S3_.kd
    .uniform_work_group_size: 1
    .uses_dynamic_stack: false
    .vgpr_count:     20
    .vgpr_spill_count: 0
    .wavefront_size: 32
    .workgroup_processor_mode: 1
  - .args:
      - .address_space:  global
        .offset:         0
        .size:           8
        .value_kind:     global_buffer
      - .address_space:  global
        .offset:         8
        .size:           8
        .value_kind:     global_buffer
      - .offset:         16
        .size:           4
        .value_kind:     hidden_block_count_x
      - .offset:         20
        .size:           4
        .value_kind:     hidden_block_count_y
      - .offset:         24
        .size:           4
        .value_kind:     hidden_block_count_z
      - .offset:         28
        .size:           2
        .value_kind:     hidden_group_size_x
      - .offset:         30
        .size:           2
        .value_kind:     hidden_group_size_y
      - .offset:         32
        .size:           2
        .value_kind:     hidden_group_size_z
      - .offset:         34
        .size:           2
        .value_kind:     hidden_remainder_x
      - .offset:         36
        .size:           2
        .value_kind:     hidden_remainder_y
      - .offset:         38
        .size:           2
        .value_kind:     hidden_remainder_z
      - .offset:         56
        .size:           8
        .value_kind:     hidden_global_offset_x
      - .offset:         64
        .size:           8
        .value_kind:     hidden_global_offset_y
      - .offset:         72
        .size:           8
        .value_kind:     hidden_global_offset_z
      - .offset:         80
        .size:           2
        .value_kind:     hidden_grid_dims
    .group_segment_fixed_size: 16960
    .kernarg_segment_align: 8
    .kernarg_segment_size: 272
    .language:       OpenCL C
    .language_version:
      - 2
      - 0
    .max_flat_workgroup_size: 512
    .name:           _Z16histogram_kernelILj512ELj4ELj512ELN6hipcub23BlockHistogramAlgorithmE1EhEvPT3_S3_
    .private_segment_fixed_size: 0
    .sgpr_count:     18
    .sgpr_spill_count: 0
    .symbol:         _Z16histogram_kernelILj512ELj4ELj512ELN6hipcub23BlockHistogramAlgorithmE1EhEvPT3_S3_.kd
    .uniform_work_group_size: 1
    .uses_dynamic_stack: false
    .vgpr_count:     31
    .vgpr_spill_count: 0
    .wavefront_size: 32
    .workgroup_processor_mode: 1
  - .args:
      - .address_space:  global
        .offset:         0
        .size:           8
        .value_kind:     global_buffer
      - .address_space:  global
        .offset:         8
        .size:           8
        .value_kind:     global_buffer
      - .offset:         16
        .size:           4
        .value_kind:     hidden_block_count_x
      - .offset:         20
        .size:           4
        .value_kind:     hidden_block_count_y
      - .offset:         24
        .size:           4
        .value_kind:     hidden_block_count_z
      - .offset:         28
        .size:           2
        .value_kind:     hidden_group_size_x
      - .offset:         30
        .size:           2
        .value_kind:     hidden_group_size_y
      - .offset:         32
        .size:           2
        .value_kind:     hidden_group_size_z
      - .offset:         34
        .size:           2
        .value_kind:     hidden_remainder_x
      - .offset:         36
        .size:           2
        .value_kind:     hidden_remainder_y
      - .offset:         38
        .size:           2
        .value_kind:     hidden_remainder_z
      - .offset:         56
        .size:           8
        .value_kind:     hidden_global_offset_x
      - .offset:         64
        .size:           8
        .value_kind:     hidden_global_offset_y
      - .offset:         72
        .size:           8
        .value_kind:     hidden_global_offset_z
      - .offset:         80
        .size:           2
        .value_kind:     hidden_grid_dims
    .group_segment_fixed_size: 8736
    .kernarg_segment_align: 8
    .kernarg_segment_size: 272
    .language:       OpenCL C
    .language_version:
      - 2
      - 0
    .max_flat_workgroup_size: 256
    .name:           _Z16histogram_kernelILj256ELj3ELj512ELN6hipcub23BlockHistogramAlgorithmE1EhEvPT3_S3_
    .private_segment_fixed_size: 0
    .sgpr_count:     18
    .sgpr_spill_count: 0
    .symbol:         _Z16histogram_kernelILj256ELj3ELj512ELN6hipcub23BlockHistogramAlgorithmE1EhEvPT3_S3_.kd
    .uniform_work_group_size: 1
    .uses_dynamic_stack: false
    .vgpr_count:     28
    .vgpr_spill_count: 0
    .wavefront_size: 32
    .workgroup_processor_mode: 1
  - .args:
      - .address_space:  global
        .offset:         0
        .size:           8
        .value_kind:     global_buffer
      - .address_space:  global
        .offset:         8
        .size:           8
        .value_kind:     global_buffer
      - .offset:         16
        .size:           4
        .value_kind:     hidden_block_count_x
      - .offset:         20
        .size:           4
        .value_kind:     hidden_block_count_y
      - .offset:         24
        .size:           4
        .value_kind:     hidden_block_count_z
      - .offset:         28
        .size:           2
        .value_kind:     hidden_group_size_x
      - .offset:         30
        .size:           2
        .value_kind:     hidden_group_size_y
      - .offset:         32
        .size:           2
        .value_kind:     hidden_group_size_z
      - .offset:         34
        .size:           2
        .value_kind:     hidden_remainder_x
      - .offset:         36
        .size:           2
        .value_kind:     hidden_remainder_y
      - .offset:         38
        .size:           2
        .value_kind:     hidden_remainder_z
      - .offset:         56
        .size:           8
        .value_kind:     hidden_global_offset_x
      - .offset:         64
        .size:           8
        .value_kind:     hidden_global_offset_y
      - .offset:         72
        .size:           8
        .value_kind:     hidden_global_offset_z
      - .offset:         80
        .size:           2
        .value_kind:     hidden_grid_dims
    .group_segment_fixed_size: 1104
    .kernarg_segment_align: 8
    .kernarg_segment_size: 272
    .language:       OpenCL C
    .language_version:
      - 2
      - 0
    .max_flat_workgroup_size: 32
    .name:           _Z16histogram_kernelILj32ELj2ELj64ELN6hipcub23BlockHistogramAlgorithmE1EhEvPT3_S3_
    .private_segment_fixed_size: 0
    .sgpr_count:     18
    .sgpr_spill_count: 0
    .symbol:         _Z16histogram_kernelILj32ELj2ELj64ELN6hipcub23BlockHistogramAlgorithmE1EhEvPT3_S3_.kd
    .uniform_work_group_size: 1
    .uses_dynamic_stack: false
    .vgpr_count:     22
    .vgpr_spill_count: 0
    .wavefront_size: 32
    .workgroup_processor_mode: 1
  - .args:
      - .address_space:  global
        .offset:         0
        .size:           8
        .value_kind:     global_buffer
      - .address_space:  global
        .offset:         8
        .size:           8
        .value_kind:     global_buffer
    .group_segment_fixed_size: 226
    .kernarg_segment_align: 8
    .kernarg_segment_size: 16
    .language:       OpenCL C
    .language_version:
      - 2
      - 0
    .max_flat_workgroup_size: 6
    .name:           _Z16histogram_kernelILj6ELj32ELj18ELN6hipcub23BlockHistogramAlgorithmE1EhEvPT3_S3_
    .private_segment_fixed_size: 0
    .sgpr_count:     18
    .sgpr_spill_count: 0
    .symbol:         _Z16histogram_kernelILj6ELj32ELj18ELN6hipcub23BlockHistogramAlgorithmE1EhEvPT3_S3_.kd
    .uniform_work_group_size: 1
    .uses_dynamic_stack: false
    .vgpr_count:     124
    .vgpr_spill_count: 0
    .wavefront_size: 32
    .workgroup_processor_mode: 1
  - .args:
      - .address_space:  global
        .offset:         0
        .size:           8
        .value_kind:     global_buffer
      - .address_space:  global
        .offset:         8
        .size:           8
        .value_kind:     global_buffer
    .group_segment_fixed_size: 16332
    .kernarg_segment_align: 8
    .kernarg_segment_size: 16
    .language:       OpenCL C
    .language_version:
      - 2
      - 0
    .max_flat_workgroup_size: 255
    .name:           _Z16histogram_kernelILj255ELj15ELj255ELN6hipcub23BlockHistogramAlgorithmE1EjEvPT3_S3_
    .private_segment_fixed_size: 0
    .sgpr_count:     19
    .sgpr_spill_count: 0
    .symbol:         _Z16histogram_kernelILj255ELj15ELj255ELN6hipcub23BlockHistogramAlgorithmE1EjEvPT3_S3_.kd
    .uniform_work_group_size: 1
    .uses_dynamic_stack: false
    .vgpr_count:     65
    .vgpr_spill_count: 0
    .wavefront_size: 32
    .workgroup_processor_mode: 1
  - .args:
      - .address_space:  global
        .offset:         0
        .size:           8
        .value_kind:     global_buffer
      - .address_space:  global
        .offset:         8
        .size:           8
        .value_kind:     global_buffer
    .group_segment_fixed_size: 5864
    .kernarg_segment_align: 8
    .kernarg_segment_size: 16
    .language:       OpenCL C
    .language_version:
      - 2
      - 0
    .max_flat_workgroup_size: 162
    .name:           _Z16histogram_kernelILj162ELj7ELj162ELN6hipcub23BlockHistogramAlgorithmE1EjEvPT3_S3_
    .private_segment_fixed_size: 0
    .sgpr_count:     19
    .sgpr_spill_count: 0
    .symbol:         _Z16histogram_kernelILj162ELj7ELj162ELN6hipcub23BlockHistogramAlgorithmE1EjEvPT3_S3_.kd
    .uniform_work_group_size: 1
    .uses_dynamic_stack: false
    .vgpr_count:     41
    .vgpr_spill_count: 0
    .wavefront_size: 32
    .workgroup_processor_mode: 1
  - .args:
      - .address_space:  global
        .offset:         0
        .size:           8
        .value_kind:     global_buffer
      - .address_space:  global
        .offset:         8
        .size:           8
        .value_kind:     global_buffer
    .group_segment_fixed_size: 2356
    .kernarg_segment_align: 8
    .kernarg_segment_size: 16
    .language:       OpenCL C
    .language_version:
      - 2
      - 0
    .max_flat_workgroup_size: 65
    .name:           _Z16histogram_kernelILj65ELj5ELj65ELN6hipcub23BlockHistogramAlgorithmE1EjEvPT3_S3_
    .private_segment_fixed_size: 0
    .sgpr_count:     20
    .sgpr_spill_count: 0
    .symbol:         _Z16histogram_kernelILj65ELj5ELj65ELN6hipcub23BlockHistogramAlgorithmE1EjEvPT3_S3_.kd
    .uniform_work_group_size: 1
    .uses_dynamic_stack: false
    .vgpr_count:     35
    .vgpr_spill_count: 0
    .wavefront_size: 32
    .workgroup_processor_mode: 1
  - .args:
      - .address_space:  global
        .offset:         0
        .size:           8
        .value_kind:     global_buffer
      - .address_space:  global
        .offset:         8
        .size:           8
        .value_kind:     global_buffer
    .group_segment_fixed_size: 1348
    .kernarg_segment_align: 8
    .kernarg_segment_size: 16
    .language:       OpenCL C
    .language_version:
      - 2
      - 0
    .max_flat_workgroup_size: 37
    .name:           _Z16histogram_kernelILj37ELj2ELj37ELN6hipcub23BlockHistogramAlgorithmE1EjEvPT3_S3_
    .private_segment_fixed_size: 0
    .sgpr_count:     22
    .sgpr_spill_count: 0
    .symbol:         _Z16histogram_kernelILj37ELj2ELj37ELN6hipcub23BlockHistogramAlgorithmE1EjEvPT3_S3_.kd
    .uniform_work_group_size: 1
    .uses_dynamic_stack: false
    .vgpr_count:     26
    .vgpr_spill_count: 0
    .wavefront_size: 32
    .workgroup_processor_mode: 1
  - .args:
      - .address_space:  global
        .offset:         0
        .size:           8
        .value_kind:     global_buffer
      - .address_space:  global
        .offset:         8
        .size:           8
        .value_kind:     global_buffer
      - .offset:         16
        .size:           4
        .value_kind:     hidden_block_count_x
      - .offset:         20
        .size:           4
        .value_kind:     hidden_block_count_y
      - .offset:         24
        .size:           4
        .value_kind:     hidden_block_count_z
      - .offset:         28
        .size:           2
        .value_kind:     hidden_group_size_x
      - .offset:         30
        .size:           2
        .value_kind:     hidden_group_size_y
      - .offset:         32
        .size:           2
        .value_kind:     hidden_group_size_z
      - .offset:         34
        .size:           2
        .value_kind:     hidden_remainder_x
      - .offset:         36
        .size:           2
        .value_kind:     hidden_remainder_y
      - .offset:         38
        .size:           2
        .value_kind:     hidden_remainder_z
      - .offset:         56
        .size:           8
        .value_kind:     hidden_global_offset_x
      - .offset:         64
        .size:           8
        .value_kind:     hidden_global_offset_y
      - .offset:         72
        .size:           8
        .value_kind:     hidden_global_offset_z
      - .offset:         80
        .size:           2
        .value_kind:     hidden_grid_dims
    .group_segment_fixed_size: 36992
    .kernarg_segment_align: 8
    .kernarg_segment_size: 272
    .language:       OpenCL C
    .language_version:
      - 2
      - 0
    .max_flat_workgroup_size: 1024
    .name:           _Z16histogram_kernelILj1024ELj1ELj1024ELN6hipcub23BlockHistogramAlgorithmE1EjEvPT3_S3_
    .private_segment_fixed_size: 0
    .sgpr_count:     22
    .sgpr_spill_count: 0
    .symbol:         _Z16histogram_kernelILj1024ELj1ELj1024ELN6hipcub23BlockHistogramAlgorithmE1EjEvPT3_S3_.kd
    .uniform_work_group_size: 1
    .uses_dynamic_stack: false
    .vgpr_count:     26
    .vgpr_spill_count: 0
    .wavefront_size: 32
    .workgroup_processor_mode: 1
  - .args:
      - .address_space:  global
        .offset:         0
        .size:           8
        .value_kind:     global_buffer
      - .address_space:  global
        .offset:         8
        .size:           8
        .value_kind:     global_buffer
      - .offset:         16
        .size:           4
        .value_kind:     hidden_block_count_x
      - .offset:         20
        .size:           4
        .value_kind:     hidden_block_count_y
      - .offset:         24
        .size:           4
        .value_kind:     hidden_block_count_z
      - .offset:         28
        .size:           2
        .value_kind:     hidden_group_size_x
      - .offset:         30
        .size:           2
        .value_kind:     hidden_group_size_y
      - .offset:         32
        .size:           2
        .value_kind:     hidden_group_size_z
      - .offset:         34
        .size:           2
        .value_kind:     hidden_remainder_x
      - .offset:         36
        .size:           2
        .value_kind:     hidden_remainder_y
      - .offset:         38
        .size:           2
        .value_kind:     hidden_remainder_z
      - .offset:         56
        .size:           8
        .value_kind:     hidden_global_offset_x
      - .offset:         64
        .size:           8
        .value_kind:     hidden_global_offset_y
      - .offset:         72
        .size:           8
        .value_kind:     hidden_global_offset_z
      - .offset:         80
        .size:           2
        .value_kind:     hidden_grid_dims
    .group_segment_fixed_size: 18496
    .kernarg_segment_align: 8
    .kernarg_segment_size: 272
    .language:       OpenCL C
    .language_version:
      - 2
      - 0
    .max_flat_workgroup_size: 512
    .name:           _Z16histogram_kernelILj512ELj4ELj512ELN6hipcub23BlockHistogramAlgorithmE1EjEvPT3_S3_
    .private_segment_fixed_size: 0
    .sgpr_count:     22
    .sgpr_spill_count: 0
    .symbol:         _Z16histogram_kernelILj512ELj4ELj512ELN6hipcub23BlockHistogramAlgorithmE1EjEvPT3_S3_.kd
    .uniform_work_group_size: 1
    .uses_dynamic_stack: false
    .vgpr_count:     35
    .vgpr_spill_count: 0
    .wavefront_size: 32
    .workgroup_processor_mode: 1
  - .args:
      - .address_space:  global
        .offset:         0
        .size:           8
        .value_kind:     global_buffer
      - .address_space:  global
        .offset:         8
        .size:           8
        .value_kind:     global_buffer
      - .offset:         16
        .size:           4
        .value_kind:     hidden_block_count_x
      - .offset:         20
        .size:           4
        .value_kind:     hidden_block_count_y
      - .offset:         24
        .size:           4
        .value_kind:     hidden_block_count_z
      - .offset:         28
        .size:           2
        .value_kind:     hidden_group_size_x
      - .offset:         30
        .size:           2
        .value_kind:     hidden_group_size_y
      - .offset:         32
        .size:           2
        .value_kind:     hidden_group_size_z
      - .offset:         34
        .size:           2
        .value_kind:     hidden_remainder_x
      - .offset:         36
        .size:           2
        .value_kind:     hidden_remainder_y
      - .offset:         38
        .size:           2
        .value_kind:     hidden_remainder_z
      - .offset:         56
        .size:           8
        .value_kind:     hidden_global_offset_x
      - .offset:         64
        .size:           8
        .value_kind:     hidden_global_offset_y
      - .offset:         72
        .size:           8
        .value_kind:     hidden_global_offset_z
      - .offset:         80
        .size:           2
        .value_kind:     hidden_grid_dims
    .group_segment_fixed_size: 10272
    .kernarg_segment_align: 8
    .kernarg_segment_size: 272
    .language:       OpenCL C
    .language_version:
      - 2
      - 0
    .max_flat_workgroup_size: 256
    .name:           _Z16histogram_kernelILj256ELj3ELj512ELN6hipcub23BlockHistogramAlgorithmE1EjEvPT3_S3_
    .private_segment_fixed_size: 0
    .sgpr_count:     24
    .sgpr_spill_count: 0
    .symbol:         _Z16histogram_kernelILj256ELj3ELj512ELN6hipcub23BlockHistogramAlgorithmE1EjEvPT3_S3_.kd
    .uniform_work_group_size: 1
    .uses_dynamic_stack: false
    .vgpr_count:     31
    .vgpr_spill_count: 0
    .wavefront_size: 32
    .workgroup_processor_mode: 1
  - .args:
      - .address_space:  global
        .offset:         0
        .size:           8
        .value_kind:     global_buffer
      - .address_space:  global
        .offset:         8
        .size:           8
        .value_kind:     global_buffer
      - .offset:         16
        .size:           4
        .value_kind:     hidden_block_count_x
      - .offset:         20
        .size:           4
        .value_kind:     hidden_block_count_y
      - .offset:         24
        .size:           4
        .value_kind:     hidden_block_count_z
      - .offset:         28
        .size:           2
        .value_kind:     hidden_group_size_x
      - .offset:         30
        .size:           2
        .value_kind:     hidden_group_size_y
      - .offset:         32
        .size:           2
        .value_kind:     hidden_group_size_z
      - .offset:         34
        .size:           2
        .value_kind:     hidden_remainder_x
      - .offset:         36
        .size:           2
        .value_kind:     hidden_remainder_y
      - .offset:         38
        .size:           2
        .value_kind:     hidden_remainder_z
      - .offset:         56
        .size:           8
        .value_kind:     hidden_global_offset_x
      - .offset:         64
        .size:           8
        .value_kind:     hidden_global_offset_y
      - .offset:         72
        .size:           8
        .value_kind:     hidden_global_offset_z
      - .offset:         80
        .size:           2
        .value_kind:     hidden_grid_dims
    .group_segment_fixed_size: 1296
    .kernarg_segment_align: 8
    .kernarg_segment_size: 272
    .language:       OpenCL C
    .language_version:
      - 2
      - 0
    .max_flat_workgroup_size: 32
    .name:           _Z16histogram_kernelILj32ELj2ELj64ELN6hipcub23BlockHistogramAlgorithmE1EjEvPT3_S3_
    .private_segment_fixed_size: 0
    .sgpr_count:     22
    .sgpr_spill_count: 0
    .symbol:         _Z16histogram_kernelILj32ELj2ELj64ELN6hipcub23BlockHistogramAlgorithmE1EjEvPT3_S3_.kd
    .uniform_work_group_size: 1
    .uses_dynamic_stack: false
    .vgpr_count:     25
    .vgpr_spill_count: 0
    .wavefront_size: 32
    .workgroup_processor_mode: 1
  - .args:
      - .address_space:  global
        .offset:         0
        .size:           8
        .value_kind:     global_buffer
      - .address_space:  global
        .offset:         8
        .size:           8
        .value_kind:     global_buffer
    .group_segment_fixed_size: 840
    .kernarg_segment_align: 8
    .kernarg_segment_size: 16
    .language:       OpenCL C
    .language_version:
      - 2
      - 0
    .max_flat_workgroup_size: 6
    .name:           _Z16histogram_kernelILj6ELj32ELj18ELN6hipcub23BlockHistogramAlgorithmE1EjEvPT3_S3_
    .private_segment_fixed_size: 0
    .sgpr_count:     18
    .sgpr_spill_count: 0
    .symbol:         _Z16histogram_kernelILj6ELj32ELj18ELN6hipcub23BlockHistogramAlgorithmE1EjEvPT3_S3_.kd
    .uniform_work_group_size: 1
    .uses_dynamic_stack: false
    .vgpr_count:     122
    .vgpr_spill_count: 0
    .wavefront_size: 32
    .workgroup_processor_mode: 1
  - .args:
      - .address_space:  global
        .offset:         0
        .size:           8
        .value_kind:     global_buffer
      - .address_space:  global
        .offset:         8
        .size:           8
        .value_kind:     global_buffer
    .group_segment_fixed_size: 1020
    .kernarg_segment_align: 8
    .kernarg_segment_size: 16
    .language:       OpenCL C
    .language_version:
      - 2
      - 0
    .max_flat_workgroup_size: 255
    .name:           _Z16histogram_kernelILj255ELj15ELj255ELN6hipcub23BlockHistogramAlgorithmE0EjEvPT3_S3_
    .private_segment_fixed_size: 0
    .sgpr_count:     18
    .sgpr_spill_count: 0
    .symbol:         _Z16histogram_kernelILj255ELj15ELj255ELN6hipcub23BlockHistogramAlgorithmE0EjEvPT3_S3_.kd
    .uniform_work_group_size: 1
    .uses_dynamic_stack: false
    .vgpr_count:     28
    .vgpr_spill_count: 0
    .wavefront_size: 32
    .workgroup_processor_mode: 1
  - .args:
      - .address_space:  global
        .offset:         0
        .size:           8
        .value_kind:     global_buffer
      - .address_space:  global
        .offset:         8
        .size:           8
        .value_kind:     global_buffer
    .group_segment_fixed_size: 648
    .kernarg_segment_align: 8
    .kernarg_segment_size: 16
    .language:       OpenCL C
    .language_version:
      - 2
      - 0
    .max_flat_workgroup_size: 162
    .name:           _Z16histogram_kernelILj162ELj7ELj162ELN6hipcub23BlockHistogramAlgorithmE0EjEvPT3_S3_
    .private_segment_fixed_size: 0
    .sgpr_count:     18
    .sgpr_spill_count: 0
    .symbol:         _Z16histogram_kernelILj162ELj7ELj162ELN6hipcub23BlockHistogramAlgorithmE0EjEvPT3_S3_.kd
    .uniform_work_group_size: 1
    .uses_dynamic_stack: false
    .vgpr_count:     20
    .vgpr_spill_count: 0
    .wavefront_size: 32
    .workgroup_processor_mode: 1
  - .args:
      - .address_space:  global
        .offset:         0
        .size:           8
        .value_kind:     global_buffer
      - .address_space:  global
        .offset:         8
        .size:           8
        .value_kind:     global_buffer
    .group_segment_fixed_size: 260
    .kernarg_segment_align: 8
    .kernarg_segment_size: 16
    .language:       OpenCL C
    .language_version:
      - 2
      - 0
    .max_flat_workgroup_size: 65
    .name:           _Z16histogram_kernelILj65ELj5ELj65ELN6hipcub23BlockHistogramAlgorithmE0EjEvPT3_S3_
    .private_segment_fixed_size: 0
    .sgpr_count:     18
    .sgpr_spill_count: 0
    .symbol:         _Z16histogram_kernelILj65ELj5ELj65ELN6hipcub23BlockHistogramAlgorithmE0EjEvPT3_S3_.kd
    .uniform_work_group_size: 1
    .uses_dynamic_stack: false
    .vgpr_count:     16
    .vgpr_spill_count: 0
    .wavefront_size: 32
    .workgroup_processor_mode: 1
  - .args:
      - .address_space:  global
        .offset:         0
        .size:           8
        .value_kind:     global_buffer
      - .address_space:  global
        .offset:         8
        .size:           8
        .value_kind:     global_buffer
    .group_segment_fixed_size: 148
    .kernarg_segment_align: 8
    .kernarg_segment_size: 16
    .language:       OpenCL C
    .language_version:
      - 2
      - 0
    .max_flat_workgroup_size: 37
    .name:           _Z16histogram_kernelILj37ELj2ELj37ELN6hipcub23BlockHistogramAlgorithmE0EjEvPT3_S3_
    .private_segment_fixed_size: 0
    .sgpr_count:     18
    .sgpr_spill_count: 0
    .symbol:         _Z16histogram_kernelILj37ELj2ELj37ELN6hipcub23BlockHistogramAlgorithmE0EjEvPT3_S3_.kd
    .uniform_work_group_size: 1
    .uses_dynamic_stack: false
    .vgpr_count:     10
    .vgpr_spill_count: 0
    .wavefront_size: 32
    .workgroup_processor_mode: 1
  - .args:
      - .address_space:  global
        .offset:         0
        .size:           8
        .value_kind:     global_buffer
      - .address_space:  global
        .offset:         8
        .size:           8
        .value_kind:     global_buffer
    .group_segment_fixed_size: 4096
    .kernarg_segment_align: 8
    .kernarg_segment_size: 16
    .language:       OpenCL C
    .language_version:
      - 2
      - 0
    .max_flat_workgroup_size: 1024
    .name:           _Z16histogram_kernelILj1024ELj1ELj1024ELN6hipcub23BlockHistogramAlgorithmE0EjEvPT3_S3_
    .private_segment_fixed_size: 0
    .sgpr_count:     18
    .sgpr_spill_count: 0
    .symbol:         _Z16histogram_kernelILj1024ELj1ELj1024ELN6hipcub23BlockHistogramAlgorithmE0EjEvPT3_S3_.kd
    .uniform_work_group_size: 1
    .uses_dynamic_stack: false
    .vgpr_count:     15
    .vgpr_spill_count: 0
    .wavefront_size: 32
    .workgroup_processor_mode: 1
  - .args:
      - .address_space:  global
        .offset:         0
        .size:           8
        .value_kind:     global_buffer
      - .address_space:  global
        .offset:         8
        .size:           8
        .value_kind:     global_buffer
    .group_segment_fixed_size: 2048
    .kernarg_segment_align: 8
    .kernarg_segment_size: 16
    .language:       OpenCL C
    .language_version:
      - 2
      - 0
    .max_flat_workgroup_size: 512
    .name:           _Z16histogram_kernelILj512ELj4ELj512ELN6hipcub23BlockHistogramAlgorithmE0EjEvPT3_S3_
    .private_segment_fixed_size: 0
    .sgpr_count:     18
    .sgpr_spill_count: 0
    .symbol:         _Z16histogram_kernelILj512ELj4ELj512ELN6hipcub23BlockHistogramAlgorithmE0EjEvPT3_S3_.kd
    .uniform_work_group_size: 1
    .uses_dynamic_stack: false
    .vgpr_count:     14
    .vgpr_spill_count: 0
    .wavefront_size: 32
    .workgroup_processor_mode: 1
  - .args:
      - .address_space:  global
        .offset:         0
        .size:           8
        .value_kind:     global_buffer
      - .address_space:  global
        .offset:         8
        .size:           8
        .value_kind:     global_buffer
    .group_segment_fixed_size: 2048
    .kernarg_segment_align: 8
    .kernarg_segment_size: 16
    .language:       OpenCL C
    .language_version:
      - 2
      - 0
    .max_flat_workgroup_size: 256
    .name:           _Z16histogram_kernelILj256ELj3ELj512ELN6hipcub23BlockHistogramAlgorithmE0EjEvPT3_S3_
    .private_segment_fixed_size: 0
    .sgpr_count:     18
    .sgpr_spill_count: 0
    .symbol:         _Z16histogram_kernelILj256ELj3ELj512ELN6hipcub23BlockHistogramAlgorithmE0EjEvPT3_S3_.kd
    .uniform_work_group_size: 1
    .uses_dynamic_stack: false
    .vgpr_count:     13
    .vgpr_spill_count: 0
    .wavefront_size: 32
    .workgroup_processor_mode: 1
  - .args:
      - .address_space:  global
        .offset:         0
        .size:           8
        .value_kind:     global_buffer
      - .address_space:  global
        .offset:         8
        .size:           8
        .value_kind:     global_buffer
    .group_segment_fixed_size: 256
    .kernarg_segment_align: 8
    .kernarg_segment_size: 16
    .language:       OpenCL C
    .language_version:
      - 2
      - 0
    .max_flat_workgroup_size: 32
    .name:           _Z16histogram_kernelILj32ELj2ELj64ELN6hipcub23BlockHistogramAlgorithmE0EjEvPT3_S3_
    .private_segment_fixed_size: 0
    .sgpr_count:     18
    .sgpr_spill_count: 0
    .symbol:         _Z16histogram_kernelILj32ELj2ELj64ELN6hipcub23BlockHistogramAlgorithmE0EjEvPT3_S3_.kd
    .uniform_work_group_size: 1
    .uses_dynamic_stack: false
    .vgpr_count:     10
    .vgpr_spill_count: 0
    .wavefront_size: 32
    .workgroup_processor_mode: 1
  - .args:
      - .address_space:  global
        .offset:         0
        .size:           8
        .value_kind:     global_buffer
      - .address_space:  global
        .offset:         8
        .size:           8
        .value_kind:     global_buffer
    .group_segment_fixed_size: 72
    .kernarg_segment_align: 8
    .kernarg_segment_size: 16
    .language:       OpenCL C
    .language_version:
      - 2
      - 0
    .max_flat_workgroup_size: 6
    .name:           _Z16histogram_kernelILj6ELj32ELj18ELN6hipcub23BlockHistogramAlgorithmE0EjEvPT3_S3_
    .private_segment_fixed_size: 0
    .sgpr_count:     18
    .sgpr_spill_count: 0
    .symbol:         _Z16histogram_kernelILj6ELj32ELj18ELN6hipcub23BlockHistogramAlgorithmE0EjEvPT3_S3_.kd
    .uniform_work_group_size: 1
    .uses_dynamic_stack: false
    .vgpr_count:     40
    .vgpr_spill_count: 0
    .wavefront_size: 32
    .workgroup_processor_mode: 1
amdhsa.target:   amdgcn-amd-amdhsa--gfx1100
amdhsa.version:
  - 1
  - 2
...

	.end_amdgpu_metadata
